;; amdgpu-corpus repo=ROCm/rocFFT kind=compiled arch=gfx906 opt=O3
	.text
	.amdgcn_target "amdgcn-amd-amdhsa--gfx906"
	.amdhsa_code_object_version 6
	.protected	bluestein_single_back_len136_dim1_half_op_CI_CI ; -- Begin function bluestein_single_back_len136_dim1_half_op_CI_CI
	.globl	bluestein_single_back_len136_dim1_half_op_CI_CI
	.p2align	8
	.type	bluestein_single_back_len136_dim1_half_op_CI_CI,@function
bluestein_single_back_len136_dim1_half_op_CI_CI: ; @bluestein_single_back_len136_dim1_half_op_CI_CI
; %bb.0:
	v_mul_u32_u24_e32 v1, 0xf10, v0
	s_load_dwordx4 s[0:3], s[4:5], 0x28
	v_lshrrev_b32_e32 v1, 16, v1
	v_mad_u64_u32 v[7:8], s[6:7], s6, 7, v[1:2]
	v_mov_b32_e32 v8, 0
	s_waitcnt lgkmcnt(0)
	v_cmp_gt_u64_e32 vcc, s[0:1], v[7:8]
	s_and_saveexec_b64 s[0:1], vcc
	s_cbranch_execz .LBB0_15
; %bb.1:
	s_mov_b32 s0, 0x24924925
	v_mul_hi_u32 v2, v7, s0
	s_load_dwordx2 s[6:7], s[4:5], 0x0
	s_load_dwordx2 s[12:13], s[4:5], 0x38
	v_mul_lo_u16_e32 v1, 17, v1
	v_sub_u16_e32 v24, v0, v1
	v_sub_u32_e32 v3, v7, v2
	v_lshrrev_b32_e32 v3, 1, v3
	v_add_u32_e32 v2, v3, v2
	v_lshrrev_b32_e32 v2, 2, v2
	v_mul_lo_u32 v2, v2, 7
	v_cmp_gt_u16_e32 vcc, 8, v24
	v_lshlrev_b32_e32 v25, 2, v24
	v_or_b32_e32 v34, 8, v24
	v_sub_u32_e32 v0, v7, v2
	v_mul_u32_u24_e32 v23, 0x88, v0
	v_or_b32_e32 v0, v23, v24
	v_lshlrev_b32_e32 v35, 2, v0
	v_or_b32_e32 v32, 16, v24
	v_or_b32_e32 v31, 24, v24
	;; [unrolled: 1-line block ×7, first 2 shown]
	s_and_saveexec_b64 s[14:15], vcc
	s_cbranch_execz .LBB0_3
; %bb.2:
	s_load_dwordx2 s[0:1], s[4:5], 0x18
	v_mov_b32_e32 v10, s3
	v_or_b32_e32 v22, 0x48, v24
	v_or_b32_e32 v38, 0x50, v24
	;; [unrolled: 1-line block ×3, first 2 shown]
	s_waitcnt lgkmcnt(0)
	s_load_dwordx4 s[8:11], s[0:1], 0x0
	s_waitcnt lgkmcnt(0)
	v_mad_u64_u32 v[0:1], s[0:1], s10, v7, 0
	v_mad_u64_u32 v[2:3], s[0:1], s8, v24, 0
	;; [unrolled: 1-line block ×5, first 2 shown]
	v_mov_b32_e32 v1, v4
	v_lshlrev_b64 v[0:1], 2, v[0:1]
	v_mov_b32_e32 v3, v5
	v_add_co_u32_e64 v33, s[0:1], s2, v0
	v_mov_b32_e32 v0, v9
	v_addc_co_u32_e64 v44, s[0:1], v10, v1, s[0:1]
	v_mad_u64_u32 v[0:1], s[0:1], s9, v34, v[0:1]
	v_mad_u64_u32 v[4:5], s[0:1], s8, v32, 0
	v_lshlrev_b64 v[2:3], 2, v[2:3]
	v_mov_b32_e32 v9, v0
	v_add_co_u32_e64 v1, s[0:1], v33, v2
	v_addc_co_u32_e64 v2, s[0:1], v44, v3, s[0:1]
	v_mov_b32_e32 v0, v5
	v_mad_u64_u32 v[10:11], s[0:1], s8, v31, 0
	v_mad_u64_u32 v[5:6], s[0:1], s9, v32, v[0:1]
	v_lshlrev_b64 v[8:9], 2, v[8:9]
	v_mov_b32_e32 v0, v11
	v_add_co_u32_e64 v8, s[0:1], v33, v8
	v_addc_co_u32_e64 v9, s[0:1], v44, v9, s[0:1]
	v_lshlrev_b64 v[3:4], 2, v[4:5]
	v_mad_u64_u32 v[5:6], s[0:1], s9, v31, v[0:1]
	v_mad_u64_u32 v[12:13], s[0:1], s8, v30, 0
	v_add_co_u32_e64 v3, s[0:1], v33, v3
	v_mov_b32_e32 v11, v5
	v_mov_b32_e32 v0, v13
	v_addc_co_u32_e64 v4, s[0:1], v44, v4, s[0:1]
	v_lshlrev_b64 v[5:6], 2, v[10:11]
	v_mad_u64_u32 v[10:11], s[0:1], s9, v30, v[0:1]
	v_mad_u64_u32 v[14:15], s[0:1], s8, v29, 0
	v_add_co_u32_e64 v5, s[0:1], v33, v5
	v_mov_b32_e32 v13, v10
	v_mov_b32_e32 v0, v15
	;; [unrolled: 7-line block ×6, first 2 shown]
	v_addc_co_u32_e64 v17, s[0:1], v44, v17, s[0:1]
	v_lshlrev_b64 v[18:19], 2, v[20:21]
	v_mad_u64_u32 v[20:21], s[0:1], s9, v22, v[0:1]
	v_mad_u64_u32 v[21:22], s[0:1], s8, v38, 0
	v_add_co_u32_e64 v18, s[0:1], v33, v18
	v_mov_b32_e32 v0, v22
	v_addc_co_u32_e64 v19, s[0:1], v44, v19, s[0:1]
	v_mad_u64_u32 v[38:39], s[0:1], s9, v38, v[0:1]
	v_mad_u64_u32 v[39:40], s[0:1], s8, v41, 0
	v_mov_b32_e32 v37, v20
	v_lshlrev_b64 v[36:37], 2, v[36:37]
	v_mov_b32_e32 v22, v38
	v_add_co_u32_e64 v36, s[0:1], v33, v36
	v_mov_b32_e32 v0, v40
	v_addc_co_u32_e64 v37, s[0:1], v44, v37, s[0:1]
	v_lshlrev_b64 v[20:21], 2, v[21:22]
	v_mad_u64_u32 v[40:41], s[0:1], s9, v41, v[0:1]
	v_or_b32_e32 v22, 0x60, v24
	v_mad_u64_u32 v[41:42], s[0:1], s8, v22, 0
	v_add_co_u32_e64 v20, s[0:1], v33, v20
	v_mov_b32_e32 v0, v42
	v_addc_co_u32_e64 v21, s[0:1], v44, v21, s[0:1]
	v_lshlrev_b64 v[38:39], 2, v[39:40]
	v_mad_u64_u32 v[42:43], s[0:1], s9, v22, v[0:1]
	global_load_dword v22, v[1:2], off
	global_load_dword v40, v25, s[6:7]
	v_or_b32_e32 v2, 0x68, v24
	v_mad_u64_u32 v[0:1], s[0:1], s8, v2, 0
	global_load_dword v43, v[8:9], off
	global_load_dword v45, v25, s[6:7] offset:32
	v_add_co_u32_e64 v8, s[0:1], v33, v38
	v_addc_co_u32_e64 v9, s[0:1], v44, v39, s[0:1]
	v_lshlrev_b64 v[38:39], 2, v[41:42]
	global_load_dword v41, v[3:4], off
	global_load_dword v42, v25, s[6:7] offset:64
	v_mad_u64_u32 v[1:2], s[0:1], s9, v2, v[1:2]
	v_or_b32_e32 v4, 0x70, v24
	v_mad_u64_u32 v[2:3], s[0:1], s8, v4, 0
	v_add_co_u32_e64 v38, s[0:1], v33, v38
	v_addc_co_u32_e64 v39, s[0:1], v44, v39, s[0:1]
	global_load_dword v46, v25, s[6:7] offset:96
	global_load_dword v47, v[5:6], off
	v_mad_u64_u32 v[3:4], s[0:1], s9, v4, v[3:4]
	v_or_b32_e32 v6, 0x78, v24
	v_mad_u64_u32 v[4:5], s[0:1], s8, v6, 0
	v_lshlrev_b64 v[0:1], 2, v[0:1]
	global_load_dword v48, v[10:11], off
	global_load_dword v49, v25, s[6:7] offset:128
	v_add_co_u32_e64 v0, s[0:1], v33, v0
	v_lshlrev_b64 v[2:3], 2, v[2:3]
	v_addc_co_u32_e64 v1, s[0:1], v44, v1, s[0:1]
	v_mad_u64_u32 v[5:6], s[0:1], s9, v6, v[5:6]
	global_load_dword v50, v[12:13], off
	global_load_dword v51, v25, s[6:7] offset:160
	global_load_dword v52, v[14:15], off
	global_load_dword v53, v25, s[6:7] offset:192
	v_add_co_u32_e64 v2, s[0:1], v33, v2
	v_or_b32_e32 v12, 0x80, v24
	v_addc_co_u32_e64 v3, s[0:1], v44, v3, s[0:1]
	v_mad_u64_u32 v[10:11], s[0:1], s8, v12, 0
	global_load_dword v13, v[16:17], off
	global_load_dword v14, v25, s[6:7] offset:224
	v_lshlrev_b64 v[4:5], 2, v[4:5]
	v_mov_b32_e32 v6, v11
	v_mad_u64_u32 v[11:12], s[0:1], s9, v12, v[6:7]
	global_load_dword v6, v[18:19], off
	global_load_dword v12, v25, s[6:7] offset:256
	global_load_dword v15, v[36:37], off
	global_load_dword v16, v25, s[6:7] offset:288
	global_load_dword v17, v[20:21], off
	s_nop 0
	global_load_dword v18, v25, s[6:7] offset:320
	v_add_co_u32_e64 v4, s[0:1], v33, v4
	v_lshlrev_b64 v[10:11], 2, v[10:11]
	v_addc_co_u32_e64 v5, s[0:1], v44, v5, s[0:1]
	v_add_co_u32_e64 v10, s[0:1], v33, v10
	v_addc_co_u32_e64 v11, s[0:1], v44, v11, s[0:1]
	s_waitcnt vmcnt(21)
	v_lshrrev_b32_e32 v19, 16, v22
	s_waitcnt vmcnt(20)
	v_mul_f16_sdwa v20, v40, v19 dst_sel:DWORD dst_unused:UNUSED_PAD src0_sel:WORD_1 src1_sel:DWORD
	v_mul_f16_sdwa v21, v40, v22 dst_sel:DWORD dst_unused:UNUSED_PAD src0_sel:WORD_1 src1_sel:DWORD
	v_fma_f16 v20, v40, v22, v20
	v_fma_f16 v19, v40, v19, -v21
	global_load_dword v21, v[8:9], off
	global_load_dword v22, v25, s[6:7] offset:352
	global_load_dword v36, v[38:39], off
	global_load_dword v37, v25, s[6:7] offset:384
	s_waitcnt vmcnt(23)
	v_lshrrev_b32_e32 v8, 16, v43
	s_waitcnt vmcnt(22)
	v_mul_f16_sdwa v33, v45, v43 dst_sel:DWORD dst_unused:UNUSED_PAD src0_sel:WORD_1 src1_sel:DWORD
	v_mul_f16_sdwa v9, v45, v8 dst_sel:DWORD dst_unused:UNUSED_PAD src0_sel:WORD_1 src1_sel:DWORD
	v_fma_f16 v8, v45, v8, -v33
	s_waitcnt vmcnt(21)
	v_lshrrev_b32_e32 v33, 16, v41
	s_waitcnt vmcnt(20)
	v_mul_f16_sdwa v38, v42, v33 dst_sel:DWORD dst_unused:UNUSED_PAD src0_sel:WORD_1 src1_sel:DWORD
	v_fma_f16 v38, v42, v41, v38
	v_mul_f16_sdwa v39, v42, v41 dst_sel:DWORD dst_unused:UNUSED_PAD src0_sel:WORD_1 src1_sel:DWORD
	global_load_dword v40, v[0:1], off
	global_load_dword v41, v25, s[6:7] offset:416
	v_pack_b32_f16 v1, v20, v19
	v_fma_f16 v9, v45, v43, v9
	ds_write_b32 v35, v1
	v_pack_b32_f16 v1, v9, v8
	global_load_dword v8, v[2:3], off
	global_load_dword v9, v25, s[6:7] offset:448
	v_fma_f16 v0, v42, v33, -v39
	v_pack_b32_f16 v0, v38, v0
	v_lshl_add_u32 v2, v23, 2, v25
	ds_write2_b32 v2, v1, v0 offset0:8 offset1:16
	global_load_dword v3, v[4:5], off
	global_load_dword v19, v25, s[6:7] offset:480
	s_nop 0
	global_load_dword v5, v[10:11], off
	global_load_dword v20, v25, s[6:7] offset:512
	s_waitcnt vmcnt(26)
	v_lshrrev_b32_e32 v0, 16, v47
	v_mul_f16_sdwa v4, v46, v47 dst_sel:DWORD dst_unused:UNUSED_PAD src0_sel:WORD_1 src1_sel:DWORD
	v_mul_f16_sdwa v1, v46, v0 dst_sel:DWORD dst_unused:UNUSED_PAD src0_sel:WORD_1 src1_sel:DWORD
	v_fma_f16 v0, v46, v0, -v4
	s_waitcnt vmcnt(25)
	v_lshrrev_b32_e32 v4, 16, v48
	s_waitcnt vmcnt(24)
	v_mul_f16_sdwa v10, v49, v4 dst_sel:DWORD dst_unused:UNUSED_PAD src0_sel:WORD_1 src1_sel:DWORD
	v_mul_f16_sdwa v11, v49, v48 dst_sel:DWORD dst_unused:UNUSED_PAD src0_sel:WORD_1 src1_sel:DWORD
	v_fma_f16 v1, v46, v47, v1
	v_fma_f16 v10, v49, v48, v10
	v_fma_f16 v4, v49, v4, -v11
	v_pack_b32_f16 v0, v1, v0
	v_pack_b32_f16 v1, v10, v4
	ds_write2_b32 v2, v0, v1 offset0:24 offset1:32
	s_waitcnt vmcnt(23)
	v_lshrrev_b32_e32 v0, 16, v50
	s_waitcnt vmcnt(22)
	v_mul_f16_sdwa v4, v51, v50 dst_sel:DWORD dst_unused:UNUSED_PAD src0_sel:WORD_1 src1_sel:DWORD
	v_mul_f16_sdwa v1, v51, v0 dst_sel:DWORD dst_unused:UNUSED_PAD src0_sel:WORD_1 src1_sel:DWORD
	v_fma_f16 v0, v51, v0, -v4
	s_waitcnt vmcnt(21)
	v_lshrrev_b32_e32 v4, 16, v52
	s_waitcnt vmcnt(20)
	v_mul_f16_sdwa v10, v53, v4 dst_sel:DWORD dst_unused:UNUSED_PAD src0_sel:WORD_1 src1_sel:DWORD
	v_mul_f16_sdwa v11, v53, v52 dst_sel:DWORD dst_unused:UNUSED_PAD src0_sel:WORD_1 src1_sel:DWORD
	v_fma_f16 v1, v51, v50, v1
	v_fma_f16 v10, v53, v52, v10
	v_fma_f16 v4, v53, v4, -v11
	v_pack_b32_f16 v0, v1, v0
	v_pack_b32_f16 v1, v10, v4
	ds_write2_b32 v2, v0, v1 offset0:40 offset1:48
	s_waitcnt vmcnt(19)
	v_lshrrev_b32_e32 v0, 16, v13
	s_waitcnt vmcnt(18)
	v_mul_f16_sdwa v4, v14, v13 dst_sel:DWORD dst_unused:UNUSED_PAD src0_sel:WORD_1 src1_sel:DWORD
	v_mul_f16_sdwa v1, v14, v0 dst_sel:DWORD dst_unused:UNUSED_PAD src0_sel:WORD_1 src1_sel:DWORD
	v_fma_f16 v0, v14, v0, -v4
	s_waitcnt vmcnt(17)
	v_lshrrev_b32_e32 v4, 16, v6
	s_waitcnt vmcnt(16)
	v_mul_f16_sdwa v10, v12, v4 dst_sel:DWORD dst_unused:UNUSED_PAD src0_sel:WORD_1 src1_sel:DWORD
	v_fma_f16 v10, v12, v6, v10
	v_mul_f16_sdwa v6, v12, v6 dst_sel:DWORD dst_unused:UNUSED_PAD src0_sel:WORD_1 src1_sel:DWORD
	v_fma_f16 v1, v14, v13, v1
	v_fma_f16 v4, v12, v4, -v6
	v_pack_b32_f16 v0, v1, v0
	v_pack_b32_f16 v1, v10, v4
	ds_write2_b32 v2, v0, v1 offset0:56 offset1:64
	s_waitcnt vmcnt(15)
	v_lshrrev_b32_e32 v0, 16, v15
	s_waitcnt vmcnt(14)
	v_mul_f16_sdwa v4, v16, v15 dst_sel:DWORD dst_unused:UNUSED_PAD src0_sel:WORD_1 src1_sel:DWORD
	v_mul_f16_sdwa v1, v16, v0 dst_sel:DWORD dst_unused:UNUSED_PAD src0_sel:WORD_1 src1_sel:DWORD
	v_fma_f16 v0, v16, v0, -v4
	s_waitcnt vmcnt(13)
	v_lshrrev_b32_e32 v4, 16, v17
	s_waitcnt vmcnt(12)
	v_mul_f16_sdwa v6, v18, v4 dst_sel:DWORD dst_unused:UNUSED_PAD src0_sel:WORD_1 src1_sel:DWORD
	v_mul_f16_sdwa v10, v18, v17 dst_sel:DWORD dst_unused:UNUSED_PAD src0_sel:WORD_1 src1_sel:DWORD
	v_fma_f16 v1, v16, v15, v1
	v_fma_f16 v6, v18, v17, v6
	v_fma_f16 v4, v18, v4, -v10
	v_pack_b32_f16 v0, v1, v0
	v_pack_b32_f16 v1, v6, v4
	ds_write2_b32 v2, v0, v1 offset0:72 offset1:80
	s_waitcnt vmcnt(11)
	v_lshrrev_b32_e32 v0, 16, v21
	s_waitcnt vmcnt(10)
	v_mul_f16_sdwa v1, v22, v0 dst_sel:DWORD dst_unused:UNUSED_PAD src0_sel:WORD_1 src1_sel:DWORD
	v_mul_f16_sdwa v4, v22, v21 dst_sel:DWORD dst_unused:UNUSED_PAD src0_sel:WORD_1 src1_sel:DWORD
	v_fma_f16 v1, v22, v21, v1
	v_fma_f16 v0, v22, v0, -v4
	v_pack_b32_f16 v0, v1, v0
	s_waitcnt vmcnt(9)
	v_lshrrev_b32_e32 v1, 16, v36
	s_waitcnt vmcnt(8)
	v_mul_f16_sdwa v4, v37, v1 dst_sel:DWORD dst_unused:UNUSED_PAD src0_sel:WORD_1 src1_sel:DWORD
	v_mul_f16_sdwa v6, v37, v36 dst_sel:DWORD dst_unused:UNUSED_PAD src0_sel:WORD_1 src1_sel:DWORD
	v_fma_f16 v4, v37, v36, v4
	v_fma_f16 v1, v37, v1, -v6
	v_pack_b32_f16 v1, v4, v1
	ds_write2_b32 v2, v0, v1 offset0:88 offset1:96
	s_waitcnt vmcnt(7)
	v_lshrrev_b32_e32 v0, 16, v40
	s_waitcnt vmcnt(6)
	v_mul_f16_sdwa v1, v41, v0 dst_sel:DWORD dst_unused:UNUSED_PAD src0_sel:WORD_1 src1_sel:DWORD
	v_mul_f16_sdwa v4, v41, v40 dst_sel:DWORD dst_unused:UNUSED_PAD src0_sel:WORD_1 src1_sel:DWORD
	v_fma_f16 v1, v41, v40, v1
	v_fma_f16 v0, v41, v0, -v4
	v_pack_b32_f16 v0, v1, v0
	s_waitcnt vmcnt(5)
	v_lshrrev_b32_e32 v1, 16, v8
	s_waitcnt vmcnt(4)
	v_mul_f16_sdwa v4, v9, v1 dst_sel:DWORD dst_unused:UNUSED_PAD src0_sel:WORD_1 src1_sel:DWORD
	v_mul_f16_sdwa v6, v9, v8 dst_sel:DWORD dst_unused:UNUSED_PAD src0_sel:WORD_1 src1_sel:DWORD
	v_fma_f16 v4, v9, v8, v4
	v_fma_f16 v1, v9, v1, -v6
	v_pack_b32_f16 v1, v4, v1
	ds_write2_b32 v2, v0, v1 offset0:104 offset1:112
	s_waitcnt vmcnt(3)
	v_lshrrev_b32_e32 v0, 16, v3
	s_waitcnt vmcnt(2)
	v_mul_f16_sdwa v1, v19, v0 dst_sel:DWORD dst_unused:UNUSED_PAD src0_sel:WORD_1 src1_sel:DWORD
	v_fma_f16 v1, v19, v3, v1
	v_mul_f16_sdwa v3, v19, v3 dst_sel:DWORD dst_unused:UNUSED_PAD src0_sel:WORD_1 src1_sel:DWORD
	v_fma_f16 v0, v19, v0, -v3
	v_pack_b32_f16 v0, v1, v0
	s_waitcnt vmcnt(1)
	v_lshrrev_b32_e32 v1, 16, v5
	s_waitcnt vmcnt(0)
	v_mul_f16_sdwa v3, v20, v1 dst_sel:DWORD dst_unused:UNUSED_PAD src0_sel:WORD_1 src1_sel:DWORD
	v_mul_f16_sdwa v4, v20, v5 dst_sel:DWORD dst_unused:UNUSED_PAD src0_sel:WORD_1 src1_sel:DWORD
	v_fma_f16 v3, v20, v5, v3
	v_fma_f16 v1, v20, v1, -v4
	v_pack_b32_f16 v1, v3, v1
	ds_write2_b32 v2, v0, v1 offset0:120 offset1:128
.LBB0_3:
	s_or_b64 exec, exec, s[14:15]
	s_load_dwordx2 s[2:3], s[4:5], 0x20
	s_load_dwordx2 s[0:1], s[4:5], 0x8
	v_mov_b32_e32 v6, 0
	v_lshlrev_b32_e32 v36, 2, v23
	s_waitcnt lgkmcnt(0)
	s_barrier
	s_waitcnt lgkmcnt(0)
                                        ; implicit-def: $vgpr1
                                        ; implicit-def: $vgpr3
                                        ; implicit-def: $vgpr5
                                        ; implicit-def: $vgpr16
                                        ; implicit-def: $vgpr18
                                        ; implicit-def: $vgpr20
                                        ; implicit-def: $vgpr22
                                        ; implicit-def: $vgpr61
                                        ; implicit-def: $vgpr12
	s_and_saveexec_b64 s[4:5], vcc
	s_cbranch_execz .LBB0_5
; %bb.4:
	v_lshl_add_u32 v0, v24, 2, v36
	ds_read2_b32 v[12:13], v0 offset0:8 offset1:16
	ds_read2_b32 v[21:22], v0 offset0:24 offset1:32
	;; [unrolled: 1-line block ×8, first 2 shown]
	ds_read_b32 v6, v35
	s_waitcnt lgkmcnt(8)
	v_alignbit_b32 v61, v13, v13, 16
.LBB0_5:
	s_or_b64 exec, exec, s[4:5]
	s_waitcnt lgkmcnt(1)
	v_pk_add_f16 v11, v12, v1 neg_lo:[0,1] neg_hi:[0,1]
	s_mov_b32 s20, 0xb5c8
	s_mov_b32 s17, 0xb964
	v_pk_add_f16 v62, v1, v12
	s_movk_i32 s16, 0x3b76
	v_mul_f16_sdwa v33, v11, s20 dst_sel:DWORD dst_unused:UNUSED_PAD src0_sel:WORD_1 src1_sel:DWORD
	s_movk_i32 s10, 0x39e9
	v_mul_f16_sdwa v48, v11, s17 dst_sel:DWORD dst_unused:UNUSED_PAD src0_sel:WORD_1 src1_sel:DWORD
	s_mov_b32 s23, 0xbbf7
	v_pk_add_f16 v64, v0, v61 op_sel:[1,0] op_sel_hi:[0,1]
	v_pk_add_f16 v10, v61, v0 op_sel:[1,0] op_sel_hi:[0,1] neg_lo:[0,1] neg_hi:[0,1]
	v_fma_f16 v8, v62, s16, v33
	v_fma_f16 v9, v62, s10, v48
	s_mov_b32 s22, 0xbb29
	s_movk_i32 s8, 0x2de8
	s_mov_b32 s25, 0xba62
	v_lshrrev_b32_e32 v65, 16, v64
	v_mul_f16_sdwa v49, v10, s17 dst_sel:DWORD dst_unused:UNUSED_PAD src0_sel:WORD_1 src1_sel:DWORD
	v_mul_f16_sdwa v52, v10, s23 dst_sel:DWORD dst_unused:UNUSED_PAD src0_sel:WORD_1 src1_sel:DWORD
	v_pk_add_f16 v13, v21, v3 neg_lo:[0,1] neg_hi:[0,1]
	s_movk_i32 s4, 0x3722
	s_mov_b32 s11, 0xb8d2
	s_mov_b32 s19, 0xb1e1
	v_fma_f16 v40, v65, s10, v49
	v_fma_f16 v41, v65, s8, v52
	v_pk_add_f16 v66, v3, v21
	v_mul_f16_sdwa v51, v13, s22 dst_sel:DWORD dst_unused:UNUSED_PAD src0_sel:WORD_1 src1_sel:DWORD
	v_mul_f16_sdwa v55, v13, s25 dst_sel:DWORD dst_unused:UNUSED_PAD src0_sel:WORD_1 src1_sel:DWORD
	v_pk_add_f16 v14, v22, v2 neg_lo:[0,1] neg_hi:[0,1]
	s_waitcnt lgkmcnt(0)
	v_add_f16_e32 v8, v8, v6
	v_add_f16_e32 v9, v9, v6
	s_mov_b32 s9, 0xbbb2
	s_mov_b32 s18, 0xbbdd
	s_movk_i32 s27, 0x3836
	v_fma_f16 v42, v66, s4, v51
	v_fma_f16 v43, v66, s11, v55
	v_pk_add_f16 v68, v2, v22
	v_mul_f16_sdwa v54, v14, s23 dst_sel:DWORD dst_unused:UNUSED_PAD src0_sel:WORD_1 src1_sel:DWORD
	v_mul_f16_sdwa v57, v14, s19 dst_sel:DWORD dst_unused:UNUSED_PAD src0_sel:WORD_1 src1_sel:DWORD
	v_pk_add_f16 v37, v19, v5 neg_lo:[0,1] neg_hi:[0,1]
	v_add_f16_e32 v8, v40, v8
	v_add_f16_e32 v9, v41, v9
	s_mov_b32 s5, 0xb461
	s_mov_b32 s15, 0xbacd
	s_movk_i32 s26, 0x3bb2
	v_fma_f16 v44, v68, s8, v54
	v_fma_f16 v45, v68, s18, v57
	v_pk_add_f16 v69, v5, v19
	v_mul_f16_sdwa v56, v37, s9 dst_sel:DWORD dst_unused:UNUSED_PAD src0_sel:WORD_1 src1_sel:DWORD
	v_mul_f16_sdwa v59, v37, s27 dst_sel:DWORD dst_unused:UNUSED_PAD src0_sel:WORD_1 src1_sel:DWORD
	v_pk_add_f16 v38, v20, v4 neg_lo:[0,1] neg_hi:[0,1]
	v_add_f16_e32 v8, v42, v8
	v_add_f16_e32 v9, v43, v9
	s_mov_b32 s21, 0xb836
	s_movk_i32 s14, 0x3b29
	v_fma_f16 v46, v69, s5, v56
	v_fma_f16 v47, v69, s15, v59
	v_pk_add_f16 v72, v4, v20
	v_mul_f16_sdwa v58, v38, s25 dst_sel:DWORD dst_unused:UNUSED_PAD src0_sel:WORD_1 src1_sel:DWORD
	v_mul_f16_sdwa v60, v38, s26 dst_sel:DWORD dst_unused:UNUSED_PAD src0_sel:WORD_1 src1_sel:DWORD
	v_pk_add_f16 v40, v17, v16 neg_lo:[0,1] neg_hi:[0,1]
	v_add_f16_e32 v8, v44, v8
	v_add_f16_e32 v9, v45, v9
	s_movk_i32 s24, 0x35c8
	v_fma_f16 v70, v72, s11, v58
	v_fma_f16 v73, v72, s5, v60
	v_pk_add_f16 v76, v16, v17
	v_mul_f16_sdwa v67, v40, s21 dst_sel:DWORD dst_unused:UNUSED_PAD src0_sel:WORD_1 src1_sel:DWORD
	v_mul_f16_sdwa v71, v40, s14 dst_sel:DWORD dst_unused:UNUSED_PAD src0_sel:WORD_1 src1_sel:DWORD
	v_add_f16_e32 v8, v46, v8
	v_add_f16_e32 v9, v47, v9
	v_pk_add_f16 v46, v18, v15 neg_lo:[0,1] neg_hi:[0,1]
	v_lshrrev_b32_e32 v63, 16, v62
	v_mul_f16_e32 v50, 0xbb29, v11
	v_fma_f16 v41, v76, s15, v67
	v_fma_f16 v42, v76, s4, v71
	v_pk_add_f16 v80, v15, v18
	v_add_f16_e32 v8, v70, v8
	v_mul_f16_sdwa v70, v46, s19 dst_sel:DWORD dst_unused:UNUSED_PAD src0_sel:WORD_1 src1_sel:DWORD
	v_add_f16_e32 v9, v73, v9
	v_mul_f16_sdwa v73, v46, s24 dst_sel:DWORD dst_unused:UNUSED_PAD src0_sel:WORD_1 src1_sel:DWORD
	v_fma_f16 v39, v63, s4, -v50
	v_fma_f16 v43, v80, s18, v70
	v_add_f16_e32 v8, v41, v8
	v_add_f16_e32 v41, v42, v9
	v_fma_f16 v42, v80, s16, v73
	v_mul_f16_e32 v74, 0xba62, v10
	v_mul_f16_sdwa v53, v11, s23 dst_sel:DWORD dst_unused:UNUSED_PAD src0_sel:WORD_1 src1_sel:DWORD
	v_add_f16_e32 v9, v43, v8
	v_add_f16_e32 v8, v42, v41
	v_fma_f16 v41, v64, s11, -v74
	v_add_f16_sdwa v39, v39, v6 dst_sel:DWORD dst_unused:UNUSED_PAD src0_sel:DWORD src1_sel:WORD_1
	v_add_f16_e32 v39, v41, v39
	v_fma_f16 v41, v62, s8, v53
	v_mul_f16_sdwa v75, v10, s19 dst_sel:DWORD dst_unused:UNUSED_PAD src0_sel:WORD_1 src1_sel:DWORD
	v_add_f16_e32 v41, v41, v6
	v_fma_f16 v42, v65, s18, v75
	v_mul_f16_e32 v77, 0xbbf7, v11
	v_add_f16_e32 v41, v42, v41
	v_fma_f16 v42, v63, s8, -v77
	v_mul_f16_e32 v78, 0xb1e1, v10
	v_add_f16_sdwa v42, v42, v6 dst_sel:DWORD dst_unused:UNUSED_PAD src0_sel:DWORD src1_sel:WORD_1
	v_fma_f16 v43, v64, s18, -v78
	v_mul_f16_e32 v82, 0xbbb2, v11
	v_add_f16_e32 v42, v43, v42
	v_fma_f16 v43, v63, s5, -v82
	v_mul_f16_e32 v83, 0x3836, v10
	v_add_f16_sdwa v43, v43, v6 dst_sel:DWORD dst_unused:UNUSED_PAD src0_sel:DWORD src1_sel:WORD_1
	v_fma_f16 v44, v64, s15, -v83
	v_mul_f16_sdwa v87, v11, s25 dst_sel:DWORD dst_unused:UNUSED_PAD src0_sel:WORD_1 src1_sel:DWORD
	v_add_f16_e32 v43, v44, v43
	v_fma_f16 v44, v62, s11, v87
	v_mul_f16_sdwa v88, v10, s26 dst_sel:DWORD dst_unused:UNUSED_PAD src0_sel:WORD_1 src1_sel:DWORD
	v_add_f16_e32 v44, v44, v6
	v_fma_f16 v45, v65, s5, v88
	v_mul_f16_e32 v91, 0xba62, v11
	v_add_f16_e32 v44, v45, v44
	v_fma_f16 v45, v63, s11, -v91
	v_mul_f16_e32 v92, 0x3bb2, v10
	v_add_f16_sdwa v45, v45, v6 dst_sel:DWORD dst_unused:UNUSED_PAD src0_sel:DWORD src1_sel:WORD_1
	v_fma_f16 v47, v64, s5, -v92
	v_mul_f16_sdwa v97, v11, s21 dst_sel:DWORD dst_unused:UNUSED_PAD src0_sel:WORD_1 src1_sel:DWORD
	v_add_f16_e32 v45, v47, v45
	v_fma_f16 v47, v62, s15, v97
	v_mul_f16_sdwa v98, v10, s14 dst_sel:DWORD dst_unused:UNUSED_PAD src0_sel:WORD_1 src1_sel:DWORD
	v_add_f16_e32 v47, v47, v6
	v_fma_f16 v79, v65, s4, v98
	v_mul_f16_e32 v105, 0xb836, v11
	v_add_f16_e32 v47, v79, v47
	v_fma_f16 v79, v63, s15, -v105
	v_mul_f16_e32 v104, 0x3b29, v10
	v_add_f16_sdwa v79, v79, v6 dst_sel:DWORD dst_unused:UNUSED_PAD src0_sel:DWORD src1_sel:WORD_1
	v_fma_f16 v81, v64, s4, -v104
	v_add_f16_e32 v84, v81, v79
	v_mul_f16_e32 v79, 0xb1e1, v11
	v_fma_f16 v81, v63, s18, v79
	v_mul_f16_e32 v85, 0x35c8, v10
	v_add_f16_sdwa v81, v81, v6 dst_sel:DWORD dst_unused:UNUSED_PAD src0_sel:DWORD src1_sel:WORD_1
	v_fma_f16 v86, v64, s16, v85
	v_fma_f16 v79, v63, s18, -v79
	v_add_f16_e32 v86, v86, v81
	v_fma_f16 v81, v64, s16, -v85
	v_add_f16_sdwa v79, v79, v6 dst_sel:DWORD dst_unused:UNUSED_PAD src0_sel:DWORD src1_sel:WORD_1
	v_add_f16_e32 v89, v81, v79
	v_lshrrev_b32_e32 v140, 16, v66
	v_mul_f16_e32 v79, 0x31e1, v13
	v_fma_f16 v81, v140, s18, -v79
	v_add_f16_e32 v39, v81, v39
	v_mul_f16_sdwa v81, v13, s26 dst_sel:DWORD dst_unused:UNUSED_PAD src0_sel:WORD_1 src1_sel:DWORD
	v_fma_f16 v85, v66, s5, v81
	v_add_f16_e32 v41, v85, v41
	v_mul_f16_e32 v85, 0x3bb2, v13
	v_fma_f16 v90, v140, s5, -v85
	v_mul_f16_e32 v93, 0x3964, v13
	v_add_f16_e32 v42, v90, v42
	v_fma_f16 v90, v140, s10, -v93
	v_mul_f16_sdwa v96, v13, s20 dst_sel:DWORD dst_unused:UNUSED_PAD src0_sel:WORD_1 src1_sel:DWORD
	v_add_f16_e32 v43, v90, v43
	v_fma_f16 v90, v66, s16, v96
	v_mul_f16_e32 v102, 0xb5c8, v13
	v_add_f16_e32 v44, v90, v44
	v_fma_f16 v90, v140, s16, -v102
	v_mul_f16_sdwa v112, v13, s23 dst_sel:DWORD dst_unused:UNUSED_PAD src0_sel:WORD_1 src1_sel:DWORD
	v_add_f16_e32 v45, v90, v45
	v_fma_f16 v90, v66, s8, v112
	v_mul_f16_e32 v120, 0xbbf7, v13
	v_add_f16_e32 v47, v90, v47
	v_fma_f16 v90, v140, s8, -v120
	v_add_f16_e32 v94, v90, v84
	v_mul_f16_e32 v84, 0xb836, v13
	v_fma_f16 v90, v140, s15, v84
	v_fma_f16 v84, v140, s15, -v84
	v_add_f16_e32 v89, v84, v89
	v_lshrrev_b32_e32 v152, 16, v68
	v_mul_f16_e32 v84, 0x3bb2, v14
	v_add_f16_e32 v95, v90, v86
	v_fma_f16 v86, v152, s5, -v84
	v_add_f16_e32 v39, v86, v39
	v_mul_f16_sdwa v86, v14, s24 dst_sel:DWORD dst_unused:UNUSED_PAD src0_sel:WORD_1 src1_sel:DWORD
	v_fma_f16 v90, v68, s16, v86
	v_add_f16_e32 v41, v90, v41
	v_mul_f16_e32 v90, 0x35c8, v14
	v_fma_f16 v99, v152, s16, -v90
	v_mul_f16_e32 v100, 0xbb29, v14
	v_add_f16_e32 v42, v99, v42
	v_fma_f16 v99, v152, s4, -v100
	v_mul_f16_sdwa v106, v14, s21 dst_sel:DWORD dst_unused:UNUSED_PAD src0_sel:WORD_1 src1_sel:DWORD
	v_add_f16_e32 v43, v99, v43
	v_fma_f16 v99, v68, s15, v106
	v_mul_f16_e32 v115, 0xb836, v14
	s_movk_i32 s23, 0x3a62
	v_add_f16_e32 v44, v99, v44
	v_fma_f16 v99, v152, s15, -v115
	v_mul_f16_sdwa v125, v14, s23 dst_sel:DWORD dst_unused:UNUSED_PAD src0_sel:WORD_1 src1_sel:DWORD
	v_add_f16_e32 v45, v99, v45
	v_fma_f16 v99, v68, s11, v125
	v_mul_f16_e32 v132, 0x3a62, v14
	v_add_f16_e32 v47, v99, v47
	v_fma_f16 v99, v152, s11, -v132
	v_add_f16_e32 v101, v99, v94
	v_mul_f16_e32 v94, 0x3964, v14
	v_fma_f16 v99, v152, s10, v94
	v_fma_f16 v94, v152, s10, -v94
	v_add_f16_e32 v103, v94, v89
	v_lshrrev_b32_e32 v161, 16, v69
	v_mul_f16_e32 v89, 0x3964, v37
	v_fma_f16 v94, v161, s10, -v89
	v_add_f16_e32 v39, v94, v39
	v_mul_f16_sdwa v94, v37, s22 dst_sel:DWORD dst_unused:UNUSED_PAD src0_sel:WORD_1 src1_sel:DWORD
	v_add_f16_e32 v95, v99, v95
	v_fma_f16 v99, v69, s4, v94
	v_add_f16_e32 v41, v99, v41
	v_mul_f16_e32 v99, 0xbb29, v37
	v_fma_f16 v107, v161, s4, -v99
	v_mul_f16_e32 v113, 0xb1e1, v37
	s_movk_i32 s22, 0x3bf7
	v_add_f16_e32 v42, v107, v42
	v_fma_f16 v107, v161, s18, -v113
	v_mul_f16_sdwa v121, v37, s22 dst_sel:DWORD dst_unused:UNUSED_PAD src0_sel:WORD_1 src1_sel:DWORD
	v_add_f16_e32 v43, v107, v43
	v_fma_f16 v107, v69, s8, v121
	v_mul_f16_e32 v130, 0x3bf7, v37
	v_add_f16_e32 v44, v107, v44
	v_fma_f16 v107, v161, s8, -v130
	v_mul_f16_sdwa v139, v37, s20 dst_sel:DWORD dst_unused:UNUSED_PAD src0_sel:WORD_1 src1_sel:DWORD
	v_add_f16_e32 v45, v107, v45
	v_fma_f16 v107, v69, s16, v139
	v_mul_f16_e32 v149, 0xb5c8, v37
	v_add_f16_e32 v47, v107, v47
	v_fma_f16 v107, v161, s16, -v149
	v_add_f16_e32 v107, v107, v101
	v_mul_f16_e32 v101, 0xba62, v37
	v_fma_f16 v108, v161, s11, v101
	v_add_f16_e32 v108, v108, v95
	v_fma_f16 v95, v161, s11, -v101
	v_add_f16_e32 v103, v95, v103
	v_lshrrev_b32_e32 v168, 16, v72
	v_mul_f16_e32 v95, 0xb5c8, v38
	v_fma_f16 v101, v168, s16, -v95
	v_add_f16_e32 v39, v101, v39
	v_mul_f16_sdwa v101, v38, s21 dst_sel:DWORD dst_unused:UNUSED_PAD src0_sel:WORD_1 src1_sel:DWORD
	v_fma_f16 v109, v72, s15, v101
	v_add_f16_e32 v41, v109, v41
	v_mul_f16_e32 v109, 0xb836, v38
	v_fma_f16 v110, v168, s15, -v109
	v_mul_f16_e32 v126, 0x3bf7, v38
	v_add_f16_e32 v42, v110, v42
	v_fma_f16 v110, v168, s8, -v126
	v_mul_f16_sdwa v133, v38, s17 dst_sel:DWORD dst_unused:UNUSED_PAD src0_sel:WORD_1 src1_sel:DWORD
	v_add_f16_e32 v43, v110, v43
	v_fma_f16 v110, v72, s10, v133
	v_mul_f16_e32 v144, 0xb964, v38
	v_add_f16_e32 v44, v110, v44
	v_fma_f16 v110, v168, s10, -v144
	v_mul_f16_sdwa v155, v38, s19 dst_sel:DWORD dst_unused:UNUSED_PAD src0_sel:WORD_1 src1_sel:DWORD
	v_add_f16_e32 v45, v110, v45
	v_fma_f16 v110, v72, s18, v155
	v_mul_f16_e32 v163, 0xb1e1, v38
	v_add_f16_e32 v47, v110, v47
	v_fma_f16 v110, v168, s18, -v163
	v_add_f16_e32 v107, v110, v107
	v_mul_f16_e32 v110, 0x3b29, v38
	v_fma_f16 v111, v168, s4, v110
	v_fma_f16 v110, v168, s4, -v110
	v_add_f16_e32 v110, v110, v103
	v_lshrrev_b32_e32 v174, 16, v76
	v_mul_f16_e32 v103, 0xbbf7, v40
	v_add_f16_e32 v108, v111, v108
	v_fma_f16 v111, v174, s8, -v103
	v_mul_f16_sdwa v114, v40, s23 dst_sel:DWORD dst_unused:UNUSED_PAD src0_sel:WORD_1 src1_sel:DWORD
	v_add_f16_e32 v39, v111, v39
	v_fma_f16 v111, v76, s11, v114
	v_mul_f16_e32 v122, 0x3a62, v40
	v_add_f16_e32 v41, v111, v41
	v_fma_f16 v111, v174, s11, -v122
	v_mul_f16_e32 v138, 0xb5c8, v40
	v_add_f16_e32 v42, v111, v42
	v_fma_f16 v111, v174, s16, -v138
	v_mul_f16_sdwa v148, v40, s19 dst_sel:DWORD dst_unused:UNUSED_PAD src0_sel:WORD_1 src1_sel:DWORD
	v_add_f16_e32 v43, v111, v43
	v_fma_f16 v111, v76, s18, v148
	v_mul_f16_e32 v160, 0xb1e1, v40
	s_movk_i32 s16, 0x3964
	v_add_f16_e32 v192, v111, v44
	v_fma_f16 v44, v174, s18, -v160
	v_mul_f16_sdwa v165, v40, s16 dst_sel:DWORD dst_unused:UNUSED_PAD src0_sel:WORD_1 src1_sel:DWORD
	v_add_f16_e32 v44, v44, v45
	v_fma_f16 v45, v76, s10, v165
	v_mul_f16_e32 v172, 0x3964, v40
	v_add_f16_e32 v193, v45, v47
	v_fma_f16 v45, v174, s10, -v172
	v_mul_f16_e32 v47, 0xbbb2, v40
	v_add_f16_e32 v45, v45, v107
	v_fma_f16 v107, v174, s5, v47
	v_fma_f16 v47, v174, s5, -v47
	s_mov_b32 s17, 0x39e93722
	v_add_f16_e32 v184, v47, v110
	s_mov_b32 s18, 0xbb29b964
	v_pk_mul_f16 v47, v62, s17
	v_pk_fma_f16 v116, v11, s18, v47 op_sel:[0,0,1] op_sel_hi:[1,1,0] neg_lo:[1,0,0] neg_hi:[1,0,0]
	v_pk_fma_f16 v117, v11, s18, v47 op_sel:[0,0,1] op_sel_hi:[1,1,0]
	s_mov_b32 s17, 0xb461bbdd
	s_mov_b32 s18, 0xbbb2b1e1
	v_add_f16_e32 v183, v107, v108
	v_mul_f16_e32 v107, 0xb5c8, v11
	v_pk_mul_f16 v153, v11, s18 op_sel:[1,0]
	v_mul_f16_e32 v108, 0x3b76, v63
	v_pk_mul_f16 v154, v62, s17 op_sel_hi:[0,1]
	s_mov_b32 s18, 0xbacd3b76
	s_mov_b32 s19, 0x383635c8
	v_pack_b32_f16 v11, v108, v154
	v_pack_b32_f16 v47, v107, v153
	v_mul_f16_e32 v110, 0x39e9, v64
	v_mul_f16_e32 v111, 0xb964, v10
	v_pk_mul_f16 v158, v64, s18 op_sel:[1,0]
	v_pk_mul_f16 v159, v10, s19 op_sel:[1,0]
	v_pk_add_f16 v11, v11, v47 neg_lo:[0,1] neg_hi:[0,1]
	v_pack_b32_f16 v47, v110, v158
	v_pack_b32_f16 v118, v111, v159
	v_pk_add_f16 v47, v47, v118 neg_lo:[0,1] neg_hi:[0,1]
	v_pk_add_f16 v11, v11, v6 op_sel:[0,1] op_sel_hi:[1,0]
	s_mov_b32 s19, 0xb8d2bbdd
	v_pk_add_f16 v11, v47, v11
	s_mov_b32 s20, 0x31e1ba62
	v_pk_mul_f16 v47, v66, s19
	v_pk_fma_f16 v127, v13, s20, v47 op_sel:[0,0,1] op_sel_hi:[1,1,0] neg_lo:[1,0,0] neg_hi:[1,0,0]
	v_pk_fma_f16 v128, v13, s20, v47 op_sel:[0,0,1] op_sel_hi:[1,1,0]
	s_mov_b32 s19, 0x39e9bacd
	s_mov_b32 s20, 0x3964b836
	v_mul_f16_e32 v118, 0xbb29, v13
	v_pk_mul_f16 v162, v13, s20 op_sel:[1,0]
	v_mul_f16_e32 v119, 0x3722, v140
	v_pk_mul_f16 v164, v66, s19 op_sel_hi:[0,1]
	v_pack_b32_f16 v13, v119, v164
	v_pack_b32_f16 v47, v118, v162
	v_pk_add_f16 v13, v13, v47 neg_lo:[0,1] neg_hi:[0,1]
	s_mov_b32 s20, 0xbbddb461
	v_pk_add_f16 v11, v13, v11
	s_mov_b32 s21, 0x3bb2b1e1
	v_pk_mul_f16 v13, v68, s20
	v_pk_fma_f16 v134, v14, s21, v13 op_sel:[0,0,1] op_sel_hi:[1,1,0] neg_lo:[1,0,0] neg_hi:[1,0,0]
	v_pk_fma_f16 v135, v14, s21, v13 op_sel:[0,0,1] op_sel_hi:[1,1,0]
	s_mov_b32 s20, 0x372239e9
	s_mov_b32 s21, 0xbb293964
	v_mul_f16_e32 v123, 0xbbf7, v14
	v_pk_mul_f16 v166, v14, s21 op_sel:[1,0]
	v_mul_f16_e32 v124, 0x2de8, v152
	v_pk_mul_f16 v167, v68, s20 op_sel_hi:[0,1]
	v_pack_b32_f16 v13, v124, v167
	v_pack_b32_f16 v14, v123, v166
	v_pk_add_f16 v13, v13, v14 neg_lo:[0,1] neg_hi:[0,1]
	;; [unrolled: 15-line block ×4, first 2 shown]
	s_mov_b32 s23, 0x37222de8
	v_pk_add_f16 v11, v13, v11
	s_mov_b32 s24, 0xbbf73b29
	v_pk_mul_f16 v13, v76, s23
	s_mov_b32 s25, 0xba623bf7
	v_pk_fma_f16 v156, v40, s24, v13 op_sel:[0,0,1] op_sel_hi:[1,1,0] neg_lo:[1,0,0] neg_hi:[1,0,0]
	v_pk_fma_f16 v157, v40, s24, v13 op_sel:[0,0,1] op_sel_hi:[1,1,0]
	s_mov_b32 s24, 0xb5c8bbb2
	v_pk_mul_f16 v182, v46, s25 op_sel:[1,0]
	s_mov_b32 s25, 0xba62bbf7
	v_pk_mul_f16 v178, v40, s24 op_sel:[1,0]
	s_mov_b32 s24, 0xb8d22de8
	v_pk_mul_f16 v37, v10, s25
	v_pk_fma_f16 v169, v64, s24, v37
	v_add_f16_sdwa v10, v117, v6 dst_sel:DWORD dst_unused:UNUSED_PAD src0_sel:WORD_1 src1_sel:DWORD
	s_mov_b32 s23, 0x3b76b461
	v_add_f16_sdwa v10, v169, v10 dst_sel:DWORD dst_unused:UNUSED_PAD src0_sel:WORD_1 src1_sel:DWORD
	v_mul_f16_e32 v143, 0xb836, v40
	v_mul_f16_e32 v145, 0xbacd, v174
	v_pk_mul_f16 v179, v76, s23 op_sel_hi:[0,1]
	v_add_f16_sdwa v10, v128, v10 dst_sel:DWORD dst_unused:UNUSED_PAD src0_sel:WORD_1 src1_sel:DWORD
	v_pack_b32_f16 v13, v145, v179
	v_pack_b32_f16 v14, v143, v178
	v_lshrrev_b32_e32 v188, 16, v80
	v_add_f16_sdwa v10, v135, v10 dst_sel:DWORD dst_unused:UNUSED_PAD src0_sel:WORD_1 src1_sel:DWORD
	v_mul_f16_e32 v177, 0xb836, v46
	v_pk_add_f16 v13, v13, v14 neg_lo:[0,1] neg_hi:[0,1]
	v_mul_f16_e32 v146, 0xbbdd, v188
	v_mul_f16_e32 v147, 0xb1e1, v46
	v_pk_mul_f16 v181, v80, s24 op_sel_hi:[0,1]
	v_add_f16_sdwa v10, v142, v10 dst_sel:DWORD dst_unused:UNUSED_PAD src0_sel:WORD_1 src1_sel:DWORD
	v_fma_f16 v38, v188, s15, -v177
	v_mul_f16_e32 v185, 0x3964, v46
	v_pk_add_f16 v13, v13, v11
	v_pack_b32_f16 v11, v146, v181
	v_pack_b32_f16 v14, v147, v182
	v_add_f16_sdwa v10, v151, v10 dst_sel:DWORD dst_unused:UNUSED_PAD src0_sel:WORD_1 src1_sel:DWORD
	v_mul_f16_sdwa v180, v46, s16 dst_sel:DWORD dst_unused:UNUSED_PAD src0_sel:WORD_1 src1_sel:DWORD
	v_add_f16_e32 v39, v38, v39
	v_fma_f16 v38, v188, s10, -v185
	v_mul_f16_e32 v186, 0xba62, v46
	v_pk_add_f16 v14, v11, v14 neg_lo:[0,1] neg_hi:[0,1]
	v_add_f16_sdwa v11, v157, v10 dst_sel:DWORD dst_unused:UNUSED_PAD src0_sel:WORD_1 src1_sel:DWORD
	v_fma_f16 v10, v80, s10, v180
	v_add_f16_e32 v40, v38, v42
	v_fma_f16 v38, v188, s11, -v186
	v_mul_f16_e32 v187, 0x3b29, v46
	v_add_f16_e32 v10, v10, v41
	v_add_f16_e32 v41, v38, v43
	v_fma_f16 v38, v188, s4, -v187
	v_mul_f16_e32 v190, 0xbbb2, v46
	v_add_f16_e32 v43, v38, v44
	v_fma_f16 v38, v188, s5, -v190
	v_add_f16_e32 v42, v38, v45
	v_pk_fma_f16 v45, v62, s17, v153 op_sel_hi:[0,1,1]
	v_pk_add_f16 v45, v45, v6 op_sel_hi:[1,0]
	v_pk_fma_f16 v47, v64, s18, v159 op_sel:[1,0,0]
	v_pk_add_f16 v45, v47, v45
	v_pk_fma_f16 v47, v66, s19, v162 op_sel_hi:[0,1,1]
	v_pk_add_f16 v45, v47, v45
	v_pk_fma_f16 v47, v68, s20, v166 op_sel_hi:[0,1,1]
	;; [unrolled: 2-line block ×5, first 2 shown]
	v_mul_f16_e32 v44, 0x3bf7, v46
	v_pk_add_f16 v47, v47, v45
	v_pk_add_f16 v45, v14, v13
	v_pk_fma_f16 v13, v80, s24, v182 op_sel_hi:[0,1,1]
	v_pk_add_f16 v47, v13, v47
	v_fma_f16 v13, v188, s8, -v44
	v_fma_f16 v38, v188, s8, v44
	v_add_f16_e32 v44, v13, v184
	v_pk_fma_f16 v184, v64, s24, v37 neg_lo:[0,0,1] neg_hi:[0,0,1]
	v_add_f16_sdwa v13, v116, v6 dst_sel:DWORD dst_unused:UNUSED_PAD src0_sel:DWORD src1_sel:WORD_1
	v_add_f16_e32 v13, v184, v13
	v_add_f16_e32 v13, v127, v13
	;; [unrolled: 1-line block ×3, first 2 shown]
	s_mov_b32 s25, 0x3b76bacd
	v_add_f16_e32 v13, v141, v13
	s_mov_b32 s26, 0xb83635c8
	v_pk_mul_f16 v189, v80, s25
	v_add_f16_e32 v13, v150, v13
	v_pk_fma_f16 v173, v46, s26, v189 op_sel:[0,0,1] op_sel_hi:[1,1,0]
	v_add_f16_e32 v38, v38, v183
	v_pk_fma_f16 v183, v46, s26, v189 op_sel:[0,0,1] op_sel_hi:[1,1,0] neg_lo:[1,0,0] neg_hi:[1,0,0]
	v_mul_f16_sdwa v189, v46, s14 dst_sel:DWORD dst_unused:UNUSED_PAD src0_sel:WORD_1 src1_sel:DWORD
	v_add_f16_e32 v13, v156, v13
	v_mul_f16_sdwa v191, v46, s9 dst_sel:DWORD dst_unused:UNUSED_PAD src0_sel:WORD_1 src1_sel:DWORD
	v_add_f16_e32 v46, v183, v13
	v_fma_f16 v13, v80, s4, v189
	v_add_f16_e32 v14, v13, v192
	v_fma_f16 v13, v80, s5, v191
	v_add_f16_sdwa v11, v173, v11 dst_sel:DWORD dst_unused:UNUSED_PAD src0_sel:WORD_1 src1_sel:DWORD
	v_add_f16_e32 v13, v13, v193
	v_mul_lo_u16_e32 v37, 17, v24
	s_barrier
	s_and_saveexec_b64 s[4:5], vcc
	s_cbranch_execz .LBB0_7
; %bb.6:
	v_mul_f16_e32 v194, 0x3722, v63
	v_mul_f16_e32 v196, 0x2de8, v63
	;; [unrolled: 1-line block ×10, first 2 shown]
	v_add_f16_e32 v63, v105, v63
	v_mul_f16_e32 v210, 0xbbdd, v140
	v_mul_f16_e32 v212, 0xb461, v140
	;; [unrolled: 1-line block ×5, first 2 shown]
	v_add_f16_e32 v64, v104, v64
	v_add_f16_sdwa v63, v63, v6 dst_sel:DWORD dst_unused:UNUSED_PAD src0_sel:DWORD src1_sel:WORD_1
	v_mul_f16_e32 v218, 0xb461, v152
	v_mul_f16_e32 v220, 0x3b76, v152
	v_mul_f16_e32 v221, 0x3722, v152
	v_mul_f16_e32 v223, 0xbacd, v152
	v_mul_f16_e32 v152, 0xb8d2, v152
	v_add_f16_e32 v63, v64, v63
	v_add_f16_e32 v64, v120, v140
	v_mul_f16_e32 v226, 0x39e9, v161
	v_mul_f16_e32 v228, 0x3722, v161
	v_mul_f16_e32 v229, 0xbbdd, v161
	v_mul_f16_e32 v231, 0x2de8, v161
	v_mul_f16_e32 v161, 0x3b76, v161
	v_add_f16_e32 v63, v64, v63
	v_add_f16_e32 v64, v132, v152
	;; [unrolled: 7-line block ×4, first 2 shown]
	v_mul_f16_e32 v192, 0x3b76, v62
	v_mul_f16_e32 v193, 0x39e9, v62
	;; [unrolled: 1-line block ×10, first 2 shown]
	v_add_f16_e32 v63, v64, v63
	v_add_f16_e32 v64, v172, v174
	v_mul_f16_e32 v200, 0x39e9, v65
	v_mul_f16_e32 v201, 0x2de8, v65
	v_mul_f16_e32 v203, 0xbbdd, v65
	v_mul_f16_e32 v206, 0xb461, v65
	v_mul_f16_e32 v65, 0x3722, v65
	v_add_f16_e32 v63, v64, v63
	v_add_f16_e32 v64, v190, v188
	v_sub_f16_e32 v62, v62, v97
	v_mul_f16_e32 v208, 0x3722, v66
	v_mul_f16_e32 v209, 0xb8d2, v66
	v_mul_f16_e32 v211, 0xb461, v66
	v_mul_f16_e32 v214, 0x3b76, v66
	v_mul_f16_e32 v66, 0x2de8, v66
	v_add_f16_e32 v63, v64, v63
	v_add_f16_e32 v62, v62, v6
	v_sub_f16_e32 v64, v65, v98
	v_mul_f16_e32 v216, 0x2de8, v68
	v_mul_f16_e32 v217, 0xbbdd, v68
	v_mul_f16_e32 v219, 0x3b76, v68
	v_mul_f16_e32 v222, 0xbacd, v68
	v_mul_f16_e32 v68, 0xb8d2, v68
	v_add_f16_e32 v62, v64, v62
	v_sub_f16_e32 v64, v66, v112
	v_mul_f16_e32 v224, 0xb461, v69
	v_mul_f16_e32 v225, 0xbacd, v69
	v_mul_f16_e32 v227, 0x3722, v69
	v_mul_f16_e32 v230, 0x2de8, v69
	v_mul_f16_e32 v69, 0x3b76, v69
	;; [unrolled: 7-line block ×5, first 2 shown]
	v_add_f16_e32 v62, v64, v62
	v_sub_f16_e32 v64, v76, v165
	v_add_f16_e32 v62, v64, v62
	v_sub_f16_e32 v64, v80, v191
	v_add_f16_e32 v62, v64, v62
	v_add_f16_e32 v64, v91, v199
	v_add_f16_sdwa v64, v64, v6 dst_sel:DWORD dst_unused:UNUSED_PAD src0_sel:DWORD src1_sel:WORD_1
	v_add_f16_e32 v65, v92, v207
	v_add_f16_e32 v64, v65, v64
	;; [unrolled: 1-line block ×14, first 2 shown]
	v_sub_f16_e32 v65, v198, v87
	v_add_f16_e32 v65, v65, v6
	v_sub_f16_e32 v66, v206, v88
	v_add_f16_e32 v65, v66, v65
	v_sub_f16_e32 v66, v214, v96
	v_add_f16_e32 v65, v66, v65
	v_sub_f16_e32 v66, v222, v106
	v_add_f16_e32 v65, v66, v65
	v_sub_f16_e32 v66, v230, v121
	v_add_f16_e32 v65, v66, v65
	v_sub_f16_e32 v66, v238, v133
	v_add_f16_e32 v65, v66, v65
	v_sub_f16_e32 v66, v246, v148
	v_add_f16_e32 v65, v66, v65
	v_sub_f16_e32 v66, v254, v189
	v_add_f16_e32 v65, v66, v65
	v_add_f16_e32 v66, v82, v197
	v_add_f16_sdwa v66, v66, v6 dst_sel:DWORD dst_unused:UNUSED_PAD src0_sel:DWORD src1_sel:WORD_1
	v_add_f16_e32 v68, v83, v205
	v_add_f16_e32 v66, v68, v66
	;; [unrolled: 1-line block ×11, first 2 shown]
	v_alignbit_b32 v104, v6, v6, 16
	v_add_f16_e32 v66, v68, v66
	v_add_f16_e32 v68, v186, v253
	v_sub_f16_sdwa v69, v154, v153 dst_sel:DWORD dst_unused:UNUSED_PAD src0_sel:WORD_1 src1_sel:WORD_1
	v_add_f16_e32 v66, v68, v66
	v_sub_f16_sdwa v68, v158, v159 dst_sel:DWORD dst_unused:UNUSED_PAD src0_sel:WORD_1 src1_sel:WORD_1
	v_add_f16_sdwa v69, v69, v104 dst_sel:DWORD dst_unused:UNUSED_PAD src0_sel:DWORD src1_sel:WORD_1
	v_add_f16_e32 v68, v68, v69
	v_sub_f16_sdwa v69, v164, v162 dst_sel:DWORD dst_unused:UNUSED_PAD src0_sel:WORD_1 src1_sel:WORD_1
	v_add_f16_e32 v68, v69, v68
	v_sub_f16_sdwa v69, v167, v166 dst_sel:DWORD dst_unused:UNUSED_PAD src0_sel:WORD_1 src1_sel:WORD_1
	;; [unrolled: 2-line block ×6, first 2 shown]
	v_add_f16_e32 v68, v69, v68
	v_add_f16_e32 v69, v77, v196
	v_add_f16_sdwa v69, v69, v6 dst_sel:DWORD dst_unused:UNUSED_PAD src0_sel:DWORD src1_sel:WORD_1
	v_add_f16_e32 v72, v78, v204
	v_add_f16_e32 v69, v72, v69
	;; [unrolled: 1-line block ×9, first 2 shown]
	v_sub_f16_e32 v48, v193, v48
	v_add_f16_e32 v69, v72, v69
	v_add_f16_e32 v72, v122, v244
	;; [unrolled: 1-line block ×3, first 2 shown]
	v_sub_f16_e32 v52, v201, v52
	v_alignbit_b32 v61, v61, v61, 16
	v_add_f16_e32 v69, v72, v69
	v_add_f16_e32 v72, v185, v252
	v_sub_f16_e32 v53, v195, v53
	v_add_f16_e32 v48, v52, v48
	v_sub_f16_e32 v52, v209, v55
	v_pk_add_f16 v12, v12, v104 op_sel:[0,1] op_sel_hi:[1,0]
	v_add_f16_e32 v69, v72, v69
	v_add_f16_e32 v53, v53, v6
	v_sub_f16_e32 v72, v203, v75
	v_add_f16_e32 v48, v52, v48
	v_sub_f16_e32 v52, v217, v57
	v_pk_add_f16 v12, v61, v12
	v_add_f16_e32 v53, v72, v53
	v_sub_f16_e32 v72, v211, v81
	v_add_f16_e32 v48, v52, v48
	v_sub_f16_e32 v52, v225, v59
	v_pk_add_f16 v12, v21, v12
	;; [unrolled: 5-line block ×5, first 2 shown]
	v_add_f16_e32 v53, v72, v53
	v_sub_f16_e32 v72, v243, v114
	v_add_f16_e32 v50, v50, v194
	v_add_f16_e32 v48, v52, v48
	;; [unrolled: 1-line block ×3, first 2 shown]
	v_sub_f16_e32 v33, v192, v33
	v_pk_add_f16 v12, v17, v12
	v_add_f16_e32 v53, v72, v53
	v_sub_f16_e32 v72, v251, v180
	v_add_f16_sdwa v50, v50, v6 dst_sel:DWORD dst_unused:UNUSED_PAD src0_sel:DWORD src1_sel:WORD_1
	v_add_f16_sdwa v52, v52, v6 dst_sel:DWORD dst_unused:UNUSED_PAD src0_sel:DWORD src1_sel:WORD_1
	v_add_f16_e32 v55, v111, v110
	v_add_f16_e32 v6, v33, v6
	v_sub_f16_e32 v33, v200, v49
	v_pk_add_f16 v12, v18, v12
	v_add_f16_e32 v53, v72, v53
	v_add_f16_e32 v72, v74, v202
	v_add_f16_e32 v52, v55, v52
	v_add_f16_e32 v55, v118, v119
	v_add_f16_e32 v6, v33, v6
	v_sub_f16_e32 v33, v208, v51
	v_pk_add_f16 v12, v15, v12
	v_add_f16_e32 v50, v72, v50
	v_add_f16_e32 v72, v79, v210
	v_add_f16_e32 v52, v55, v52
	;; [unrolled: 7-line block ×6, first 2 shown]
	v_add_f16_e32 v55, v147, v146
	v_add_f16_e32 v6, v33, v6
	v_sub_f16_e32 v33, v248, v70
	v_pk_add_f16 v2, v3, v2
	v_add_f16_e32 v50, v72, v50
	v_add_f16_e32 v72, v177, v250
	s_mov_b32 s8, 0xffff
	v_add_f16_e32 v52, v55, v52
	v_add_f16_e32 v6, v33, v6
	v_pk_add_f16 v0, v0, v2
	v_add_f16_e32 v50, v72, v50
	v_bfi_b32 v72, s8, v117, v116
	v_add_lshl_u32 v19, v23, v37, 2
	v_pk_add_f16 v0, v1, v0
	v_pack_b32_f16 v1, v6, v52
	v_bfi_b32 v74, s8, v169, v184
	ds_write2_b32 v19, v0, v1 offset1:1
	v_pk_add_f16 v0, v72, v104
	v_bfi_b32 v75, s8, v128, v127
	v_pk_add_f16 v0, v74, v0
	v_bfi_b32 v76, s8, v135, v134
	;; [unrolled: 2-line block ×6, first 2 shown]
	v_pk_add_f16 v0, v79, v0
	v_pk_add_f16 v0, v80, v0
	v_alignbit_b32 v1, v50, v0, 16
	v_pack_b32_f16 v0, v48, v0
	ds_write2_b32 v19, v0, v1 offset0:2 offset1:3
	v_pack_b32_f16 v0, v53, v69
	v_pack_b32_f16 v1, v68, v66
	ds_write2_b32 v19, v0, v1 offset0:4 offset1:5
	v_pack_b32_f16 v0, v62, v63
	v_pack_b32_f16 v1, v65, v64
	s_mov_b32 s8, 0x5040100
	ds_write2_b32 v19, v1, v0 offset0:6 offset1:7
	v_perm_b32 v0, v44, v47, s8
	v_alignbit_b32 v1, v38, v45, 16
	ds_write2_b32 v19, v1, v0 offset0:8 offset1:9
	v_perm_b32 v0, v43, v14, s8
	v_perm_b32 v1, v42, v13, s8
	ds_write2_b32 v19, v1, v0 offset0:10 offset1:11
	v_perm_b32 v0, v40, v10, s8
	v_alignbit_b32 v1, v41, v47, 16
	ds_write2_b32 v19, v1, v0 offset0:12 offset1:13
	v_perm_b32 v0, v46, v8, s8
	v_perm_b32 v1, v39, v11, s8
	ds_write2_b32 v19, v1, v0 offset0:14 offset1:15
	v_perm_b32 v0, v45, v9, s8
	ds_write_b32 v19, v0 offset:64
.LBB0_7:
	s_or_b64 exec, exec, s[4:5]
	v_mad_u64_u32 v[15:16], s[0:1], v24, 28, s[0:1]
	s_load_dwordx4 s[8:11], s[2:3], 0x0
	s_waitcnt lgkmcnt(0)
	s_barrier
	global_load_dwordx4 v[0:3], v[15:16], off
	global_load_dwordx3 v[4:6], v[15:16], off offset:16
	v_add_lshl_u32 v48, v23, v24, 2
	ds_read2_b32 v[15:16], v48 offset1:17
	ds_read2_b32 v[17:18], v48 offset0:34 offset1:51
	ds_read2_b32 v[19:20], v48 offset0:68 offset1:85
	;; [unrolled: 1-line block ×3, first 2 shown]
	s_mov_b32 s0, 0xb9a8
	s_movk_i32 s1, 0x39a8
	s_waitcnt lgkmcnt(2)
	v_lshrrev_b32_e32 v33, 16, v17
	v_lshrrev_b32_e32 v23, 16, v16
	;; [unrolled: 1-line block ×3, first 2 shown]
	s_waitcnt lgkmcnt(1)
	v_lshrrev_b32_e32 v50, 16, v19
	v_lshrrev_b32_e32 v51, 16, v20
	s_waitcnt lgkmcnt(0)
	v_lshrrev_b32_e32 v52, 16, v21
	v_lshrrev_b32_e32 v53, 16, v22
	;; [unrolled: 1-line block ×3, first 2 shown]
	s_waitcnt vmcnt(1)
	v_mul_f16_sdwa v54, v23, v0 dst_sel:DWORD dst_unused:UNUSED_PAD src0_sel:DWORD src1_sel:WORD_1
	v_mul_f16_sdwa v55, v16, v0 dst_sel:DWORD dst_unused:UNUSED_PAD src0_sel:DWORD src1_sel:WORD_1
	v_mul_f16_sdwa v56, v33, v1 dst_sel:DWORD dst_unused:UNUSED_PAD src0_sel:DWORD src1_sel:WORD_1
	v_mul_f16_sdwa v57, v17, v1 dst_sel:DWORD dst_unused:UNUSED_PAD src0_sel:DWORD src1_sel:WORD_1
	v_mul_f16_sdwa v58, v49, v2 dst_sel:DWORD dst_unused:UNUSED_PAD src0_sel:DWORD src1_sel:WORD_1
	v_mul_f16_sdwa v59, v18, v2 dst_sel:DWORD dst_unused:UNUSED_PAD src0_sel:DWORD src1_sel:WORD_1
	v_mul_f16_sdwa v60, v50, v3 dst_sel:DWORD dst_unused:UNUSED_PAD src0_sel:DWORD src1_sel:WORD_1
	v_mul_f16_sdwa v61, v19, v3 dst_sel:DWORD dst_unused:UNUSED_PAD src0_sel:DWORD src1_sel:WORD_1
	s_waitcnt vmcnt(0)
	v_mul_f16_sdwa v62, v51, v4 dst_sel:DWORD dst_unused:UNUSED_PAD src0_sel:DWORD src1_sel:WORD_1
	v_mul_f16_sdwa v63, v20, v4 dst_sel:DWORD dst_unused:UNUSED_PAD src0_sel:DWORD src1_sel:WORD_1
	;; [unrolled: 1-line block ×6, first 2 shown]
	v_fma_f16 v16, v16, v0, -v54
	v_fma_f16 v23, v23, v0, v55
	v_fma_f16 v17, v17, v1, -v56
	v_fma_f16 v33, v33, v1, v57
	;; [unrolled: 2-line block ×7, first 2 shown]
	v_sub_f16_e32 v19, v15, v19
	v_sub_f16_e32 v50, v12, v50
	;; [unrolled: 1-line block ×8, first 2 shown]
	v_fma_f16 v15, v15, 2.0, -v19
	v_fma_f16 v12, v12, 2.0, -v50
	;; [unrolled: 1-line block ×8, first 2 shown]
	v_sub_f16_e32 v55, v19, v52
	v_add_f16_e32 v58, v50, v21
	v_sub_f16_e32 v57, v20, v53
	v_add_f16_e32 v22, v51, v22
	v_sub_f16_e32 v54, v15, v17
	v_sub_f16_e32 v33, v12, v33
	v_sub_f16_e32 v56, v16, v18
	v_sub_f16_e32 v59, v23, v49
	v_fma_f16 v19, v19, 2.0, -v55
	v_fma_f16 v21, v50, 2.0, -v58
	;; [unrolled: 1-line block ×8, first 2 shown]
	v_fma_f16 v49, v18, s0, v19
	v_fma_f16 v50, v20, s0, v21
	v_sub_f16_e32 v17, v15, v16
	v_sub_f16_e32 v52, v12, v23
	v_fma_f16 v20, v20, s0, v49
	v_fma_f16 v53, v18, s1, v50
	v_fma_f16 v49, v15, 2.0, -v17
	v_fma_f16 v50, v12, 2.0, -v52
	v_fma_f16 v12, v57, s1, v55
	v_fma_f16 v15, v22, s1, v58
	v_fma_f16 v18, v19, 2.0, -v20
	v_fma_f16 v51, v21, 2.0, -v53
	v_sub_f16_e32 v21, v54, v59
	v_add_f16_e32 v56, v33, v56
	v_fma_f16 v22, v22, s0, v12
	v_fma_f16 v57, v57, s1, v15
	v_fma_f16 v19, v54, 2.0, -v21
	v_fma_f16 v54, v33, 2.0, -v56
	;; [unrolled: 1-line block ×4, first 2 shown]
	v_lshl_add_u32 v33, v24, 2, v36
	v_pack_b32_f16 v12, v49, v50
	v_pack_b32_f16 v15, v18, v51
	ds_write2_b32 v33, v12, v15 offset1:17
	v_pack_b32_f16 v12, v19, v54
	v_pack_b32_f16 v15, v16, v55
	ds_write2_b32 v33, v12, v15 offset0:34 offset1:51
	v_pack_b32_f16 v12, v17, v52
	v_pack_b32_f16 v15, v20, v53
	ds_write2_b32 v33, v12, v15 offset0:68 offset1:85
	;; [unrolled: 3-line block ×3, first 2 shown]
	s_waitcnt lgkmcnt(0)
	s_barrier
	s_and_saveexec_b64 s[0:1], vcc
	s_cbranch_execz .LBB0_9
; %bb.8:
	global_load_dword v12, v25, s[6:7] offset:544
	s_add_u32 s2, s6, 0x220
	s_addc_u32 s3, s7, 0
	global_load_dword v15, v25, s[2:3] offset:32
	global_load_dword v23, v25, s[2:3] offset:64
	;; [unrolled: 1-line block ×10, first 2 shown]
	ds_read_b32 v58, v35
	global_load_dword v78, v25, s[2:3] offset:352
	global_load_dword v79, v25, s[2:3] offset:384
	;; [unrolled: 1-line block ×6, first 2 shown]
	s_waitcnt lgkmcnt(0)
	v_lshrrev_b32_e32 v59, 16, v58
	s_waitcnt vmcnt(16)
	v_mul_f16_sdwa v60, v59, v12 dst_sel:DWORD dst_unused:UNUSED_PAD src0_sel:DWORD src1_sel:WORD_1
	v_mul_f16_sdwa v61, v58, v12 dst_sel:DWORD dst_unused:UNUSED_PAD src0_sel:DWORD src1_sel:WORD_1
	v_fma_f16 v58, v58, v12, -v60
	v_fma_f16 v12, v59, v12, v61
	v_pack_b32_f16 v12, v58, v12
	ds_write_b32 v35, v12
	ds_read2_b32 v[58:59], v33 offset0:8 offset1:16
	ds_read2_b32 v[60:61], v33 offset0:24 offset1:32
	;; [unrolled: 1-line block ×6, first 2 shown]
	s_waitcnt lgkmcnt(5)
	v_lshrrev_b32_e32 v12, 16, v58
	s_waitcnt vmcnt(15)
	v_mul_f16_sdwa v84, v58, v15 dst_sel:DWORD dst_unused:UNUSED_PAD src0_sel:DWORD src1_sel:WORD_1
	v_lshrrev_b32_e32 v85, 16, v59
	s_waitcnt vmcnt(14)
	v_mul_f16_sdwa v86, v59, v23 dst_sel:DWORD dst_unused:UNUSED_PAD src0_sel:DWORD src1_sel:WORD_1
	s_waitcnt lgkmcnt(4)
	v_lshrrev_b32_e32 v87, 16, v60
	s_waitcnt vmcnt(13)
	v_mul_f16_sdwa v88, v60, v70 dst_sel:DWORD dst_unused:UNUSED_PAD src0_sel:DWORD src1_sel:WORD_1
	v_lshrrev_b32_e32 v89, 16, v61
	s_waitcnt vmcnt(12)
	v_mul_f16_sdwa v90, v61, v71 dst_sel:DWORD dst_unused:UNUSED_PAD src0_sel:DWORD src1_sel:WORD_1
	;; [unrolled: 7-line block ×3, first 2 shown]
	s_waitcnt lgkmcnt(2)
	v_lshrrev_b32_e32 v95, 16, v64
	s_waitcnt vmcnt(9)
	v_mul_f16_sdwa v96, v64, v74 dst_sel:DWORD dst_unused:UNUSED_PAD src0_sel:DWORD src1_sel:WORD_1
	v_lshrrev_b32_e32 v97, 16, v65
	v_mul_f16_sdwa v102, v12, v15 dst_sel:DWORD dst_unused:UNUSED_PAD src0_sel:DWORD src1_sel:WORD_1
	v_fma_f16 v12, v12, v15, v84
	v_mul_f16_sdwa v84, v85, v23 dst_sel:DWORD dst_unused:UNUSED_PAD src0_sel:DWORD src1_sel:WORD_1
	s_waitcnt vmcnt(8)
	v_mul_f16_sdwa v98, v65, v75 dst_sel:DWORD dst_unused:UNUSED_PAD src0_sel:DWORD src1_sel:WORD_1
	v_fma_f16 v85, v85, v23, v86
	v_mul_f16_sdwa v86, v87, v70 dst_sel:DWORD dst_unused:UNUSED_PAD src0_sel:DWORD src1_sel:WORD_1
	v_fma_f16 v87, v87, v70, v88
	;; [unrolled: 2-line block ×6, first 2 shown]
	v_mul_f16_sdwa v96, v97, v75 dst_sel:DWORD dst_unused:UNUSED_PAD src0_sel:DWORD src1_sel:WORD_1
	v_fma_f16 v15, v58, v15, -v102
	v_fma_f16 v23, v59, v23, -v84
	s_waitcnt lgkmcnt(1)
	v_lshrrev_b32_e32 v99, 16, v66
	s_waitcnt vmcnt(7)
	v_mul_f16_sdwa v100, v66, v76 dst_sel:DWORD dst_unused:UNUSED_PAD src0_sel:DWORD src1_sel:WORD_1
	v_lshrrev_b32_e32 v101, 16, v67
	v_fma_f16 v97, v97, v75, v98
	v_fma_f16 v58, v60, v70, -v86
	v_fma_f16 v59, v61, v71, -v88
	;; [unrolled: 1-line block ×6, first 2 shown]
	v_pack_b32_f16 v12, v15, v12
	v_pack_b32_f16 v15, v23, v85
	v_mul_f16_sdwa v98, v99, v76 dst_sel:DWORD dst_unused:UNUSED_PAD src0_sel:DWORD src1_sel:WORD_1
	v_fma_f16 v99, v99, v76, v100
	s_waitcnt vmcnt(6)
	v_mul_f16_sdwa v100, v101, v77 dst_sel:DWORD dst_unused:UNUSED_PAD src0_sel:DWORD src1_sel:WORD_1
	v_pack_b32_f16 v23, v58, v87
	v_pack_b32_f16 v58, v59, v89
	;; [unrolled: 1-line block ×6, first 2 shown]
	ds_write2_b32 v33, v12, v15 offset0:8 offset1:16
	ds_write2_b32 v33, v23, v58 offset0:24 offset1:32
	;; [unrolled: 1-line block ×4, first 2 shown]
	v_mul_f16_sdwa v12, v67, v77 dst_sel:DWORD dst_unused:UNUSED_PAD src0_sel:DWORD src1_sel:WORD_1
	v_fma_f16 v64, v66, v76, -v98
	v_fma_f16 v65, v67, v77, -v100
	v_fma_f16 v12, v101, v77, v12
	v_pack_b32_f16 v63, v64, v99
	v_pack_b32_f16 v12, v65, v12
	ds_write2_b32 v33, v63, v12 offset0:72 offset1:80
	s_waitcnt lgkmcnt(5)
	v_lshrrev_b32_e32 v12, 16, v68
	s_waitcnt vmcnt(5)
	v_mul_f16_sdwa v15, v12, v78 dst_sel:DWORD dst_unused:UNUSED_PAD src0_sel:DWORD src1_sel:WORD_1
	v_mul_f16_sdwa v23, v68, v78 dst_sel:DWORD dst_unused:UNUSED_PAD src0_sel:DWORD src1_sel:WORD_1
	v_fma_f16 v15, v68, v78, -v15
	v_fma_f16 v12, v12, v78, v23
	ds_read2_b32 v[58:59], v33 offset0:104 offset1:112
	v_pack_b32_f16 v12, v15, v12
	v_lshrrev_b32_e32 v15, 16, v69
	s_waitcnt vmcnt(4)
	v_mul_f16_sdwa v23, v15, v79 dst_sel:DWORD dst_unused:UNUSED_PAD src0_sel:DWORD src1_sel:WORD_1
	v_mul_f16_sdwa v60, v69, v79 dst_sel:DWORD dst_unused:UNUSED_PAD src0_sel:DWORD src1_sel:WORD_1
	v_fma_f16 v23, v69, v79, -v23
	v_fma_f16 v15, v15, v79, v60
	v_pack_b32_f16 v15, v23, v15
	ds_write2_b32 v33, v12, v15 offset0:88 offset1:96
	s_waitcnt lgkmcnt(1)
	v_lshrrev_b32_e32 v12, 16, v58
	s_waitcnt vmcnt(3)
	v_mul_f16_sdwa v15, v12, v80 dst_sel:DWORD dst_unused:UNUSED_PAD src0_sel:DWORD src1_sel:WORD_1
	v_mul_f16_sdwa v23, v58, v80 dst_sel:DWORD dst_unused:UNUSED_PAD src0_sel:DWORD src1_sel:WORD_1
	v_fma_f16 v15, v58, v80, -v15
	v_fma_f16 v12, v12, v80, v23
	ds_read2_b32 v[60:61], v33 offset0:120 offset1:128
	v_pack_b32_f16 v12, v15, v12
	v_lshrrev_b32_e32 v15, 16, v59
	s_waitcnt vmcnt(2)
	v_mul_f16_sdwa v23, v15, v81 dst_sel:DWORD dst_unused:UNUSED_PAD src0_sel:DWORD src1_sel:WORD_1
	v_mul_f16_sdwa v58, v59, v81 dst_sel:DWORD dst_unused:UNUSED_PAD src0_sel:DWORD src1_sel:WORD_1
	v_fma_f16 v23, v59, v81, -v23
	v_fma_f16 v15, v15, v81, v58
	v_pack_b32_f16 v15, v23, v15
	ds_write2_b32 v33, v12, v15 offset0:104 offset1:112
	s_waitcnt lgkmcnt(1)
	v_lshrrev_b32_e32 v12, 16, v60
	s_waitcnt vmcnt(1)
	v_mul_f16_sdwa v15, v12, v82 dst_sel:DWORD dst_unused:UNUSED_PAD src0_sel:DWORD src1_sel:WORD_1
	v_mul_f16_sdwa v23, v60, v82 dst_sel:DWORD dst_unused:UNUSED_PAD src0_sel:DWORD src1_sel:WORD_1
	v_fma_f16 v15, v60, v82, -v15
	v_fma_f16 v12, v12, v82, v23
	v_pack_b32_f16 v12, v15, v12
	v_lshrrev_b32_e32 v15, 16, v61
	s_waitcnt vmcnt(0)
	v_mul_f16_sdwa v23, v15, v83 dst_sel:DWORD dst_unused:UNUSED_PAD src0_sel:DWORD src1_sel:WORD_1
	v_mul_f16_sdwa v58, v61, v83 dst_sel:DWORD dst_unused:UNUSED_PAD src0_sel:DWORD src1_sel:WORD_1
	v_fma_f16 v23, v61, v83, -v23
	v_fma_f16 v15, v15, v83, v58
	v_pack_b32_f16 v15, v23, v15
	ds_write2_b32 v33, v12, v15 offset0:120 offset1:128
.LBB0_9:
	s_or_b64 exec, exec, s[0:1]
	s_waitcnt lgkmcnt(0)
	s_barrier
	s_and_saveexec_b64 s[0:1], vcc
	s_cbranch_execz .LBB0_11
; %bb.10:
	ds_read_b32 v49, v35
	ds_read2_b32 v[18:19], v33 offset0:8 offset1:16
	ds_read2_b32 v[16:17], v33 offset0:24 offset1:32
	;; [unrolled: 1-line block ×8, first 2 shown]
	s_mov_b32 s2, 0x5040100
	s_waitcnt lgkmcnt(8)
	v_lshrrev_b32_e32 v50, 16, v49
	s_waitcnt lgkmcnt(7)
	v_lshrrev_b32_e32 v51, 16, v18
	v_lshrrev_b32_e32 v54, 16, v19
	s_waitcnt lgkmcnt(6)
	v_lshrrev_b32_e32 v55, 16, v16
	;; [unrolled: 3-line block ×8, first 2 shown]
	v_perm_b32 v47, v15, v12, s2
	v_alignbit_b32 v45, v23, v9, 16
.LBB0_11:
	s_or_b64 exec, exec, s[0:1]
	s_barrier
	s_and_saveexec_b64 s[0:1], vcc
	s_cbranch_execz .LBB0_13
; %bb.12:
	v_add_f16_e32 v77, v45, v51
	v_mul_f16_e32 v78, 0xbbdd, v77
	v_sub_f16_e32 v12, v18, v9
	s_movk_i32 s25, 0x31e1
	v_fma_f16 v15, v12, s25, v78
	v_add_f16_e32 v79, v46, v54
	v_add_f16_e32 v23, v50, v15
	v_mul_f16_e32 v80, 0x3b76, v79
	v_sub_f16_e32 v15, v19, v8
	s_mov_b32 s15, 0xb5c8
	v_fma_f16 v58, v15, s15, v80
	v_add_f16_e32 v81, v39, v55
	v_add_f16_e32 v23, v58, v23
	v_mul_f16_e32 v82, 0xbacd, v81
	v_sub_f16_e32 v58, v16, v11
	s_movk_i32 s21, 0x3836
	v_fma_f16 v59, v58, s21, v82
	v_add_f16_e32 v83, v40, v52
	v_add_f16_e32 v23, v59, v23
	v_mul_f16_e32 v84, 0x39e9, v83
	v_sub_f16_e32 v59, v17, v10
	s_mov_b32 s18, 0xb964
	v_fma_f16 v60, v59, s18, v84
	v_add_f16_e32 v85, v41, v53
	v_add_f16_e32 v23, v60, v23
	v_mul_f16_e32 v86, 0xb8d2, v85
	v_sub_f16_sdwa v60, v20, v47 dst_sel:DWORD dst_unused:UNUSED_PAD src0_sel:DWORD src1_sel:WORD_1
	s_movk_i32 s31, 0x3a62
	v_fma_f16 v61, v60, s31, v86
	v_add_f16_e32 v87, v43, v56
	v_add_f16_e32 v23, v61, v23
	v_mul_f16_e32 v88, 0x3722, v87
	v_sub_f16_e32 v61, v21, v14
	s_mov_b32 s20, 0xbb29
	v_fma_f16 v62, v61, s20, v88
	v_add_f16_e32 v89, v42, v57
	v_add_f16_e32 v23, v62, v23
	v_mul_f16_e32 v90, 0xb461, v89
	v_sub_f16_e32 v62, v22, v13
	s_movk_i32 s26, 0x3bb2
	v_fma_f16 v63, v62, s26, v90
	v_add_f16_e32 v91, v44, v38
	v_add_f16_e32 v23, v63, v23
	v_mul_f16_e32 v92, 0x2de8, v91
	v_sub_f16_sdwa v63, v45, v47 dst_sel:DWORD dst_unused:UNUSED_PAD src0_sel:WORD_1 src1_sel:DWORD
	s_mov_b32 s23, 0xbbf7
	v_fma_f16 v64, v63, s23, v92
	v_sub_f16_e32 v93, v51, v45
	s_mov_b32 s2, 0xbbdd
	v_add_f16_e32 v23, v64, v23
	v_add_f16_e32 v64, v9, v18
	v_mul_f16_e32 v94, 0xb1e1, v93
	v_fma_f16 v65, v64, s2, v94
	v_sub_f16_e32 v95, v54, v46
	s_movk_i32 s4, 0x3b76
	v_add_f16_e32 v66, v49, v65
	v_add_f16_e32 v65, v8, v19
	v_mul_f16_e32 v96, 0x35c8, v95
	v_fma_f16 v67, v65, s4, v96
	v_sub_f16_e32 v97, v55, v39
	s_mov_b32 s3, 0xbacd
	v_add_f16_e32 v67, v67, v66
	v_add_f16_e32 v66, v11, v16
	v_mul_f16_e32 v98, 0xb836, v97
	v_fma_f16 v68, v66, s3, v98
	v_sub_f16_e32 v99, v52, v40
	s_movk_i32 s14, 0x39e9
	v_add_f16_e32 v68, v68, v67
	v_add_f16_e32 v67, v10, v17
	v_mul_f16_e32 v100, 0x3964, v99
	v_fma_f16 v69, v67, s14, v100
	v_sub_f16_e32 v101, v53, v41
	s_mov_b32 s5, 0xb8d2
	v_add_f16_e32 v69, v69, v68
	v_add_f16_sdwa v68, v47, v20 dst_sel:DWORD dst_unused:UNUSED_PAD src0_sel:WORD_1 src1_sel:DWORD
	v_mul_f16_e32 v102, 0xba62, v101
	v_fma_f16 v70, v68, s5, v102
	v_sub_f16_e32 v103, v56, v43
	s_movk_i32 s16, 0x3722
	v_add_f16_e32 v69, v70, v69
	v_add_f16_e32 v70, v14, v21
	v_mul_f16_e32 v104, 0x3b29, v103
	v_fma_f16 v71, v70, s16, v104
	v_sub_f16_e32 v105, v57, v42
	s_mov_b32 s17, 0xb461
	v_add_f16_e32 v69, v71, v69
	v_add_f16_e32 v71, v13, v22
	v_mul_f16_e32 v106, 0xbbb2, v105
	v_fma_f16 v72, v71, s17, v106
	v_sub_f16_e32 v107, v38, v44
	s_movk_i32 s19, 0x2de8
	v_add_f16_e32 v69, v72, v69
	v_add_f16_sdwa v72, v47, v45 dst_sel:DWORD dst_unused:UNUSED_PAD src0_sel:DWORD src1_sel:WORD_1
	v_mul_f16_e32 v108, 0x3bf7, v107
	v_fma_f16 v73, v72, s19, v108
	v_mul_f16_e32 v109, 0xbacd, v77
	v_add_f16_e32 v69, v73, v69
	v_fma_f16 v73, v12, s21, v109
	v_mul_f16_e32 v110, 0x3722, v79
	s_movk_i32 s34, 0x3bf7
	v_add_f16_e32 v73, v50, v73
	v_fma_f16 v74, v15, s20, v110
	v_mul_f16_e32 v111, 0x2de8, v81
	s_mov_b32 s27, 0xba62
	v_add_f16_e32 v73, v74, v73
	v_fma_f16 v74, v58, s34, v111
	v_mul_f16_e32 v112, 0xb8d2, v83
	s_movk_i32 s28, 0x35c8
	v_add_f16_e32 v73, v74, v73
	v_fma_f16 v74, v59, s27, v112
	v_mul_f16_e32 v113, 0x3b76, v85
	v_add_f16_e32 v73, v74, v73
	v_fma_f16 v74, v60, s28, v113
	v_mul_f16_e32 v114, 0xbbdd, v87
	;; [unrolled: 3-line block ×13, first 2 shown]
	s_mov_b32 s29, 0xbbb2
	v_add_f16_e32 v74, v75, v74
	v_fma_f16 v75, v12, s31, v125
	v_mul_f16_e32 v126, 0xb461, v79
	v_add_f16_e32 v75, v50, v75
	v_fma_f16 v76, v15, s29, v126
	v_mul_f16_e32 v127, 0x3b76, v81
	;; [unrolled: 3-line block ×4, first 2 shown]
	s_movk_i32 s33, 0x3964
	v_add_f16_e32 v75, v76, v75
	v_fma_f16 v76, v60, s23, v129
	v_mul_f16_e32 v130, 0x39e9, v87
	v_add_f16_e32 v75, v76, v75
	v_fma_f16 v76, v61, s33, v130
	v_mul_f16_e32 v131, 0xbbdd, v89
	;; [unrolled: 3-line block ×5, first 2 shown]
	v_add_f16_e32 v76, v49, v76
	v_fma_f16 v135, v65, s17, v134
	v_add_f16_e32 v76, v135, v76
	v_mul_f16_e32 v135, 0xb5c8, v97
	v_fma_f16 v136, v66, s4, v135
	v_add_f16_e32 v76, v136, v76
	v_mul_f16_e32 v136, 0xb836, v99
	;; [unrolled: 3-line block ×7, first 2 shown]
	s_mov_b32 s24, 0xb836
	v_fma_f16 v142, v12, s26, v141
	v_mul_f16_e32 v143, 0xbacd, v79
	v_add_f16_e32 v142, v50, v142
	v_fma_f16 v144, v15, s24, v143
	v_add_f16_e32 v142, v144, v142
	v_mul_f16_e32 v144, 0x39e9, v81
	v_fma_f16 v145, v58, s18, v144
	s_movk_i32 s30, 0x3b29
	v_add_f16_e32 v142, v145, v142
	v_mul_f16_e32 v145, 0x3722, v83
	v_fma_f16 v146, v59, s30, v145
	v_add_f16_e32 v142, v146, v142
	v_mul_f16_e32 v146, 0xbbdd, v85
	v_fma_f16 v147, v60, s25, v146
	;; [unrolled: 3-line block ×3, first 2 shown]
	v_add_f16_e32 v142, v148, v142
	v_mul_f16_e32 v148, 0x3b76, v89
	v_add_f16_e32 v18, v18, v49
	v_fma_f16 v149, v62, s28, v148
	v_add_f16_e32 v18, v19, v18
	v_add_f16_e32 v142, v149, v142
	v_mul_f16_e32 v149, 0xb8d2, v91
	v_add_f16_e32 v16, v16, v18
	v_fma_f16 v150, v63, s31, v149
	v_add_f16_e32 v16, v17, v16
	v_add_f16_e32 v142, v150, v142
	v_mul_f16_e32 v150, 0xbbb2, v93
	v_add_f16_e32 v16, v20, v16
	v_fma_f16 v151, v64, s17, v150
	v_mul_f16_e32 v152, 0x3836, v95
	v_add_f16_e32 v16, v21, v16
	v_add_f16_e32 v151, v49, v151
	v_fma_f16 v153, v65, s3, v152
	v_add_f16_e32 v16, v22, v16
	v_add_f16_e32 v151, v153, v151
	v_mul_f16_e32 v153, 0x3964, v97
	v_add_f16_sdwa v16, v45, v16 dst_sel:DWORD dst_unused:UNUSED_PAD src0_sel:WORD_1 src1_sel:DWORD
	v_fma_f16 v154, v66, s14, v153
	v_add_f16_e32 v16, v47, v16
	v_add_f16_e32 v151, v154, v151
	v_mul_f16_e32 v154, 0xbb29, v99
	v_add_f16_e32 v13, v13, v16
	v_fma_f16 v155, v67, s16, v154
	v_add_f16_e32 v13, v14, v13
	v_add_f16_e32 v151, v155, v151
	v_mul_f16_e32 v155, 0xb1e1, v101
	v_add_f16_sdwa v13, v47, v13 dst_sel:DWORD dst_unused:UNUSED_PAD src0_sel:WORD_1 src1_sel:DWORD
	v_fma_f16 v156, v68, s2, v155
	v_add_f16_e32 v10, v10, v13
	s_mov_b32 s22, 0xb1e1
	v_add_f16_e32 v151, v156, v151
	v_mul_f16_e32 v156, 0x3bf7, v103
	v_add_f16_e32 v10, v11, v10
	v_fma_f16 v157, v70, s19, v156
	v_add_f16_e32 v8, v8, v10
	v_fma_f16 v10, v12, s22, v78
	v_add_f16_e32 v151, v157, v151
	v_mul_f16_e32 v157, 0xb5c8, v105
	v_add_f16_e32 v10, v50, v10
	v_fma_f16 v11, v15, s28, v80
	v_fma_f16 v158, v71, s4, v157
	v_add_f16_e32 v10, v11, v10
	v_fma_f16 v11, v58, s24, v82
	v_add_f16_e32 v151, v158, v151
	v_mul_f16_e32 v158, 0xba62, v107
	v_add_f16_e32 v10, v11, v10
	v_fma_f16 v11, v59, s33, v84
	;; [unrolled: 7-line block ×3, first 2 shown]
	v_fma_f16 v160, v12, s34, v159
	v_mul_f16_e32 v161, 0xbbdd, v79
	v_add_f16_e32 v10, v11, v10
	v_fma_f16 v11, v62, s29, v90
	v_add_f16_e32 v160, v50, v160
	v_fma_f16 v162, v15, s25, v161
	;; [unrolled: 2-line block ×3, first 2 shown]
	v_add_f16_e32 v160, v162, v160
	v_mul_f16_e32 v162, 0xb461, v81
	v_add_f16_e32 v10, v11, v10
	v_fma_f16 v11, v64, s2, -v94
	v_fma_f16 v163, v58, s29, v162
	v_add_f16_e32 v11, v49, v11
	v_fma_f16 v13, v65, s4, -v96
	v_add_f16_e32 v160, v163, v160
	v_mul_f16_e32 v163, 0x3b76, v83
	v_add_f16_e32 v11, v13, v11
	v_fma_f16 v13, v66, s3, -v98
	v_fma_f16 v164, v59, s15, v163
	v_add_f16_e32 v11, v13, v11
	v_fma_f16 v13, v67, s14, -v100
	;; [unrolled: 7-line block ×4, first 2 shown]
	v_add_f16_e32 v160, v166, v160
	v_mul_f16_e32 v166, 0xb8d2, v89
	v_add_f16_e32 v11, v13, v11
	v_fma_f16 v13, v12, s24, v109
	v_fma_f16 v167, v62, s27, v166
	v_add_f16_e32 v13, v50, v13
	v_fma_f16 v14, v15, s30, v110
	v_add_f16_e32 v160, v167, v160
	v_mul_f16_e32 v167, 0x39e9, v91
	v_add_f16_e32 v13, v14, v13
	v_fma_f16 v14, v58, s23, v111
	v_fma_f16 v168, v63, s18, v167
	v_add_f16_e32 v13, v14, v13
	v_fma_f16 v14, v59, s31, v112
	v_add_f16_e32 v160, v168, v160
	v_mul_f16_e32 v168, 0xbbf7, v93
	v_add_f16_e32 v13, v14, v13
	v_fma_f16 v14, v60, s15, v113
	v_fma_f16 v169, v64, s19, v168
	v_mul_f16_e32 v170, 0xb1e1, v95
	v_add_f16_e32 v13, v14, v13
	v_fma_f16 v14, v61, s22, v114
	v_add_f16_e32 v169, v49, v169
	v_fma_f16 v171, v65, s2, v170
	;; [unrolled: 2-line block ×3, first 2 shown]
	v_add_f16_e32 v169, v171, v169
	v_mul_f16_e32 v171, 0x3bb2, v97
	v_add_f16_e32 v13, v14, v13
	v_fma_f16 v14, v63, s29, v116
	v_fma_f16 v172, v66, s17, v171
	v_add_f16_e32 v13, v14, v13
	v_fma_f16 v14, v64, s3, -v117
	v_add_f16_e32 v169, v172, v169
	v_mul_f16_e32 v172, 0x35c8, v99
	v_add_f16_e32 v14, v49, v14
	v_fma_f16 v16, v65, s16, -v118
	v_fma_f16 v173, v67, s4, v172
	v_add_f16_e32 v14, v16, v14
	v_fma_f16 v16, v66, s19, -v119
	v_add_f16_e32 v169, v173, v169
	v_mul_f16_e32 v173, 0xbb29, v101
	v_add_f16_e32 v14, v16, v14
	v_fma_f16 v16, v67, s5, -v120
	;; [unrolled: 7-line block ×4, first 2 shown]
	v_fma_f16 v176, v71, s5, v175
	v_add_f16_e32 v14, v16, v14
	v_fma_f16 v16, v12, s27, v125
	v_add_f16_e32 v169, v176, v169
	v_mul_f16_e32 v176, 0x3964, v107
	v_add_f16_e32 v16, v50, v16
	v_fma_f16 v17, v15, s26, v126
	v_fma_f16 v177, v72, s14, v176
	v_add_f16_e32 v16, v17, v16
	v_fma_f16 v17, v58, s15, v127
	v_add_f16_e32 v169, v177, v169
	v_mul_f16_e32 v177, 0x3722, v77
	v_add_f16_e32 v16, v17, v16
	v_fma_f16 v17, v59, s24, v128
	v_fma_f16 v178, v12, s30, v177
	v_mul_f16_e32 v179, 0xb8d2, v79
	v_add_f16_e32 v16, v17, v16
	v_fma_f16 v17, v60, s34, v129
	v_add_f16_e32 v178, v50, v178
	v_fma_f16 v180, v15, s31, v179
	;; [unrolled: 2-line block ×3, first 2 shown]
	v_add_f16_e32 v178, v180, v178
	v_mul_f16_e32 v180, 0xbbdd, v81
	v_add_f16_e32 v16, v17, v16
	v_fma_f16 v17, v62, s22, v131
	v_fma_f16 v181, v58, s22, v180
	v_add_f16_e32 v16, v17, v16
	v_fma_f16 v17, v63, s30, v132
	v_add_f16_e32 v178, v181, v178
	v_mul_f16_e32 v181, 0xb461, v83
	v_add_f16_e32 v16, v17, v16
	v_fma_f16 v17, v64, s5, -v133
	v_fma_f16 v182, v59, s29, v181
	v_add_f16_e32 v17, v49, v17
	v_fma_f16 v18, v65, s17, -v134
	v_add_f16_e32 v178, v182, v178
	v_mul_f16_e32 v182, 0x39e9, v85
	v_add_f16_e32 v17, v18, v17
	v_fma_f16 v18, v66, s4, -v135
	v_fma_f16 v183, v60, s18, v182
	v_add_f16_e32 v17, v18, v17
	v_fma_f16 v18, v67, s3, -v136
	;; [unrolled: 7-line block ×4, first 2 shown]
	v_add_f16_e32 v178, v185, v178
	v_mul_f16_e32 v185, 0xbacd, v91
	v_add_f16_e32 v17, v18, v17
	v_fma_f16 v18, v12, s29, v141
	v_fma_f16 v186, v63, s21, v185
	v_add_f16_e32 v18, v50, v18
	v_fma_f16 v19, v15, s21, v143
	v_add_f16_e32 v178, v186, v178
	v_mul_f16_e32 v186, 0xbb29, v93
	v_add_f16_e32 v18, v19, v18
	v_fma_f16 v19, v58, s33, v144
	v_fma_f16 v187, v64, s16, v186
	v_mul_f16_e32 v188, 0xba62, v95
	v_add_f16_e32 v18, v19, v18
	v_fma_f16 v19, v59, s20, v145
	v_add_f16_e32 v187, v49, v187
	v_fma_f16 v189, v65, s5, v188
	;; [unrolled: 2-line block ×3, first 2 shown]
	v_add_f16_e32 v187, v189, v187
	v_mul_f16_e32 v189, 0x31e1, v97
	v_add_f16_e32 v18, v19, v18
	v_fma_f16 v19, v61, s34, v147
	v_fma_f16 v190, v66, s2, v189
	v_add_f16_e32 v18, v19, v18
	v_fma_f16 v19, v62, s15, v148
	v_add_f16_e32 v187, v190, v187
	v_mul_f16_e32 v190, 0x3bb2, v99
	v_add_f16_e32 v18, v19, v18
	v_fma_f16 v19, v63, s27, v149
	v_fma_f16 v191, v67, s17, v190
	v_add_f16_e32 v18, v19, v18
	v_fma_f16 v19, v64, s17, -v150
	v_add_f16_e32 v187, v191, v187
	v_mul_f16_e32 v191, 0x3964, v101
	v_add_f16_e32 v19, v49, v19
	v_fma_f16 v20, v65, s3, -v152
	v_fma_f16 v192, v68, s14, v191
	v_add_f16_e32 v19, v20, v19
	v_fma_f16 v20, v66, s14, -v153
	v_add_f16_e32 v187, v192, v187
	v_mul_f16_e32 v192, 0xb5c8, v103
	v_add_f16_e32 v19, v20, v19
	v_fma_f16 v20, v67, s16, -v154
	;; [unrolled: 7-line block ×4, first 2 shown]
	v_fma_f16 v195, v72, s3, v194
	v_add_f16_e32 v19, v20, v19
	v_fma_f16 v20, v12, s23, v159
	v_add_f16_e32 v187, v195, v187
	v_mul_f16_e32 v195, 0x39e9, v77
	v_add_f16_e32 v20, v50, v20
	v_fma_f16 v21, v15, s22, v161
	v_fma_f16 v196, v12, s33, v195
	v_mul_f16_e32 v197, 0x2de8, v79
	v_add_f16_e32 v20, v21, v20
	v_fma_f16 v21, v58, s26, v162
	v_add_f16_e32 v196, v50, v196
	v_fma_f16 v198, v15, s34, v197
	v_add_f16_e32 v20, v21, v20
	v_fma_f16 v21, v59, s28, v163
	v_add_f16_e32 v196, v198, v196
	v_mul_f16_e32 v198, 0xb8d2, v81
	v_add_f16_e32 v20, v21, v20
	v_fma_f16 v21, v60, s20, v164
	v_fma_f16 v199, v58, s31, v198
	v_add_f16_e32 v20, v21, v20
	v_fma_f16 v21, v61, s24, v165
	v_add_f16_e32 v196, v199, v196
	v_mul_f16_e32 v199, 0xbbdd, v83
	v_add_f16_e32 v20, v21, v20
	v_fma_f16 v21, v62, s31, v166
	v_fma_f16 v200, v59, s25, v199
	v_add_f16_e32 v20, v21, v20
	v_fma_f16 v21, v63, s33, v167
	v_add_f16_e32 v196, v200, v196
	v_mul_f16_e32 v200, 0xbacd, v85
	v_add_f16_e32 v20, v21, v20
	v_fma_f16 v21, v64, s19, -v168
	v_fma_f16 v201, v60, s24, v200
	v_add_f16_e32 v21, v49, v21
	v_fma_f16 v22, v65, s2, -v170
	v_add_f16_e32 v196, v201, v196
	v_mul_f16_e32 v201, 0xb461, v87
	v_add_f16_e32 v8, v9, v8
	v_add_f16_e32 v9, v51, v50
	;; [unrolled: 1-line block ×3, first 2 shown]
	v_fma_f16 v22, v66, s17, -v171
	v_fma_f16 v202, v61, s29, v201
	v_add_f16_e32 v9, v54, v9
	v_add_f16_e32 v21, v22, v21
	v_fma_f16 v22, v67, s4, -v172
	v_add_f16_e32 v196, v202, v196
	v_mul_f16_e32 v202, 0x3722, v89
	v_add_f16_e32 v9, v55, v9
	v_add_f16_e32 v21, v22, v21
	v_fma_f16 v22, v68, s16, -v173
	v_fma_f16 v203, v62, s20, v202
	v_add_f16_e32 v9, v52, v9
	v_add_f16_e32 v21, v22, v21
	v_fma_f16 v22, v70, s3, -v174
	v_add_f16_e32 v196, v203, v196
	v_mul_f16_e32 v203, 0x3b76, v91
	v_add_f16_e32 v9, v53, v9
	v_add_f16_e32 v21, v22, v21
	;; [unrolled: 9-line block ×3, first 2 shown]
	v_fma_f16 v22, v12, s20, v177
	v_fma_f16 v205, v64, s14, v204
	v_mul_f16_e32 v206, 0xbbf7, v95
	v_add_f16_e32 v9, v38, v9
	v_add_f16_e32 v22, v50, v22
	v_fma_f16 v38, v15, s27, v179
	v_add_f16_e32 v205, v49, v205
	v_fma_f16 v207, v65, s19, v206
	v_add_f16_e32 v22, v38, v22
	v_fma_f16 v38, v58, s25, v180
	v_add_f16_e32 v205, v207, v205
	v_mul_f16_e32 v207, 0xba62, v97
	v_add_f16_e32 v22, v38, v22
	v_fma_f16 v38, v59, s26, v181
	v_fma_f16 v208, v66, s5, v207
	v_add_f16_e32 v9, v44, v9
	v_add_f16_e32 v22, v38, v22
	v_fma_f16 v38, v60, s33, v182
	v_add_f16_e32 v205, v208, v205
	v_mul_f16_e32 v208, 0xb1e1, v99
	v_add_f16_e32 v9, v42, v9
	v_add_f16_e32 v22, v38, v22
	v_fma_f16 v38, v61, s15, v183
	v_fma_f16 v209, v67, s2, v208
	v_add_f16_e32 v9, v43, v9
	v_add_f16_e32 v22, v38, v22
	v_fma_f16 v38, v62, s23, v184
	v_add_f16_e32 v205, v209, v205
	v_mul_f16_e32 v209, 0x3836, v101
	v_add_f16_e32 v9, v41, v9
	v_add_f16_e32 v22, v38, v22
	v_fma_f16 v38, v63, s24, v185
	v_fma_f16 v210, v68, s3, v209
	v_add_f16_e32 v9, v40, v9
	v_add_f16_e32 v22, v38, v22
	v_fma_f16 v38, v64, s16, -v186
	v_add_f16_e32 v205, v210, v205
	v_mul_f16_e32 v210, 0x3bb2, v103
	v_add_f16_e32 v9, v39, v9
	v_add_f16_e32 v38, v49, v38
	v_fma_f16 v39, v65, s5, -v188
	v_fma_f16 v211, v70, s17, v210
	v_add_f16_e32 v38, v39, v38
	v_fma_f16 v39, v66, s2, -v189
	v_add_f16_e32 v205, v211, v205
	v_mul_f16_e32 v211, 0x3b29, v105
	v_add_f16_e32 v38, v39, v38
	v_fma_f16 v39, v67, s17, -v190
	v_fma_f16 v212, v71, s16, v211
	v_add_f16_e32 v38, v39, v38
	v_fma_f16 v39, v68, s14, -v191
	v_add_f16_e32 v205, v212, v205
	v_mul_f16_e32 v212, 0x35c8, v107
	v_add_f16_e32 v38, v39, v38
	v_fma_f16 v39, v70, s4, -v192
	v_fma_f16 v213, v72, s4, v212
	v_mul_f16_e32 v77, 0x3b76, v77
	v_add_f16_e32 v38, v39, v38
	v_fma_f16 v39, v71, s19, -v193
	v_add_f16_e32 v205, v213, v205
	v_fma_f16 v213, v12, s28, v77
	v_mul_f16_e32 v79, 0x39e9, v79
	v_add_f16_e32 v38, v39, v38
	v_fma_f16 v39, v72, s3, -v194
	v_add_f16_e32 v213, v50, v213
	v_fma_f16 v214, v15, s33, v79
	v_mul_f16_e32 v81, 0x3722, v81
	v_add_f16_e32 v38, v39, v38
	v_fma_f16 v39, v12, s18, v195
	v_add_f16_e32 v213, v214, v213
	v_fma_f16 v214, v58, s30, v81
	v_mul_f16_e32 v83, 0x2de8, v83
	v_add_f16_e32 v39, v50, v39
	v_fma_f16 v40, v15, s23, v197
	;; [unrolled: 5-line block ×8, first 2 shown]
	v_fma_f16 v12, v12, s15, v77
	v_add_f16_e32 v214, v49, v214
	v_fma_f16 v215, v65, s14, v95
	v_mul_f16_e32 v97, 0xbb29, v97
	v_add_f16_e32 v39, v40, v39
	v_fma_f16 v40, v64, s14, -v204
	v_add_f16_e32 v12, v50, v12
	v_fma_f16 v15, v15, s18, v79
	v_add_f16_e32 v214, v215, v214
	v_fma_f16 v215, v66, s16, v97
	v_mul_f16_e32 v99, 0xbbf7, v99
	v_add_f16_e32 v40, v49, v40
	v_fma_f16 v41, v65, s19, -v206
	v_add_f16_e32 v12, v15, v12
	;; [unrolled: 7-line block ×6, first 2 shown]
	v_fma_f16 v15, v62, s24, v89
	v_add_f16_e32 v214, v215, v214
	v_fma_f16 v215, v72, s2, v107
	v_add_f16_e32 v9, v46, v9
	v_add_f16_e32 v40, v41, v40
	v_fma_f16 v41, v71, s16, -v211
	v_add_f16_e32 v12, v15, v12
	v_fma_f16 v15, v63, s22, v91
	v_add_f16_e32 v214, v215, v214
	v_add_f16_e32 v9, v45, v9
	;; [unrolled: 1-line block ×3, first 2 shown]
	v_fma_f16 v41, v72, s4, -v212
	v_add_f16_e32 v12, v15, v12
	v_fma_f16 v15, v64, s4, -v93
	v_add_f16_e32 v40, v41, v40
	v_add_f16_e32 v15, v49, v15
	v_fma_f16 v41, v65, s14, -v95
	v_lshl_add_u32 v36, v37, 2, v36
	v_pack_b32_f16 v37, v214, v213
	v_pack_b32_f16 v8, v8, v9
	v_add_f16_e32 v15, v41, v15
	v_fma_f16 v41, v66, s16, -v97
	ds_write2_b32 v36, v8, v37 offset1:1
	v_pack_b32_f16 v8, v187, v178
	v_pack_b32_f16 v9, v205, v196
	v_add_f16_e32 v15, v41, v15
	v_fma_f16 v41, v67, s19, -v99
	ds_write2_b32 v36, v9, v8 offset0:2 offset1:3
	v_pack_b32_f16 v8, v151, v142
	v_pack_b32_f16 v9, v169, v160
	v_add_f16_e32 v15, v41, v15
	v_fma_f16 v41, v68, s17, -v101
	ds_write2_b32 v36, v9, v8 offset0:4 offset1:5
	;; [unrolled: 5-line block ×5, first 2 shown]
	v_pack_b32_f16 v8, v21, v20
	v_pack_b32_f16 v9, v19, v18
	v_add_f16_e32 v15, v41, v15
	ds_write2_b32 v36, v9, v8 offset0:12 offset1:13
	v_pack_b32_f16 v8, v40, v39
	v_pack_b32_f16 v9, v38, v22
	ds_write2_b32 v36, v9, v8 offset0:14 offset1:15
	v_pack_b32_f16 v8, v15, v12
	ds_write_b32 v36, v8 offset:64
.LBB0_13:
	s_or_b64 exec, exec, s[0:1]
	s_waitcnt lgkmcnt(0)
	s_barrier
	ds_read2_b32 v[8:9], v48 offset1:17
	ds_read2_b32 v[10:11], v48 offset0:34 offset1:51
	ds_read2_b32 v[12:13], v48 offset0:68 offset1:85
	;; [unrolled: 1-line block ×3, first 2 shown]
	s_mov_b32 s0, 0xb9a8
	s_waitcnt lgkmcnt(3)
	v_lshrrev_b32_e32 v17, 16, v9
	v_mul_f16_sdwa v36, v0, v17 dst_sel:DWORD dst_unused:UNUSED_PAD src0_sel:WORD_1 src1_sel:DWORD
	s_waitcnt lgkmcnt(2)
	v_lshrrev_b32_e32 v18, 16, v10
	v_fma_f16 v36, v0, v9, v36
	v_mul_f16_sdwa v9, v0, v9 dst_sel:DWORD dst_unused:UNUSED_PAD src0_sel:WORD_1 src1_sel:DWORD
	v_fma_f16 v0, v0, v17, -v9
	v_mul_f16_sdwa v9, v1, v18 dst_sel:DWORD dst_unused:UNUSED_PAD src0_sel:WORD_1 src1_sel:DWORD
	v_lshrrev_b32_e32 v19, 16, v11
	v_fma_f16 v9, v1, v10, v9
	v_mul_f16_sdwa v10, v1, v10 dst_sel:DWORD dst_unused:UNUSED_PAD src0_sel:WORD_1 src1_sel:DWORD
	v_fma_f16 v1, v1, v18, -v10
	v_mul_f16_sdwa v10, v2, v19 dst_sel:DWORD dst_unused:UNUSED_PAD src0_sel:WORD_1 src1_sel:DWORD
	s_waitcnt lgkmcnt(1)
	v_lshrrev_b32_e32 v20, 16, v12
	v_fma_f16 v10, v2, v11, v10
	v_mul_f16_sdwa v11, v2, v11 dst_sel:DWORD dst_unused:UNUSED_PAD src0_sel:WORD_1 src1_sel:DWORD
	v_fma_f16 v2, v2, v19, -v11
	v_mul_f16_sdwa v11, v3, v20 dst_sel:DWORD dst_unused:UNUSED_PAD src0_sel:WORD_1 src1_sel:DWORD
	v_lshrrev_b32_e32 v21, 16, v13
	v_fma_f16 v11, v3, v12, v11
	v_mul_f16_sdwa v12, v3, v12 dst_sel:DWORD dst_unused:UNUSED_PAD src0_sel:WORD_1 src1_sel:DWORD
	v_fma_f16 v3, v3, v20, -v12
	;; [unrolled: 11-line block ×3, first 2 shown]
	v_mul_f16_sdwa v14, v6, v23 dst_sel:DWORD dst_unused:UNUSED_PAD src0_sel:WORD_1 src1_sel:DWORD
	v_fma_f16 v14, v6, v15, v14
	v_mul_f16_sdwa v15, v6, v15 dst_sel:DWORD dst_unused:UNUSED_PAD src0_sel:WORD_1 src1_sel:DWORD
	v_lshrrev_b32_e32 v16, 16, v8
	v_fma_f16 v6, v6, v23, -v15
	v_sub_f16_e32 v11, v8, v11
	v_sub_f16_e32 v3, v16, v3
	;; [unrolled: 1-line block ×8, first 2 shown]
	v_fma_f16 v8, v8, 2.0, -v11
	v_fma_f16 v15, v16, 2.0, -v3
	;; [unrolled: 1-line block ×8, first 2 shown]
	v_add_f16_e32 v5, v11, v5
	v_sub_f16_e32 v13, v3, v13
	v_add_f16_e32 v6, v12, v6
	v_sub_f16_e32 v14, v4, v14
	v_sub_f16_e32 v9, v8, v9
	;; [unrolled: 1-line block ×3, first 2 shown]
	v_fma_f16 v11, v11, 2.0, -v5
	v_fma_f16 v3, v3, 2.0, -v13
	v_sub_f16_e32 v10, v16, v10
	v_sub_f16_e32 v2, v0, v2
	v_fma_f16 v12, v12, 2.0, -v6
	v_fma_f16 v4, v4, 2.0, -v14
	;; [unrolled: 1-line block ×6, first 2 shown]
	v_fma_f16 v17, v12, s0, v11
	v_fma_f16 v18, v4, s0, v3
	s_movk_i32 s1, 0x39a8
	v_sub_f16_e32 v16, v8, v16
	v_sub_f16_e32 v0, v15, v0
	v_fma_f16 v4, v4, s1, v17
	v_fma_f16 v12, v12, s0, v18
	;; [unrolled: 1-line block ×4, first 2 shown]
	v_fma_f16 v8, v8, 2.0, -v16
	v_fma_f16 v15, v15, 2.0, -v0
	;; [unrolled: 1-line block ×4, first 2 shown]
	v_add_f16_e32 v2, v9, v2
	v_sub_f16_e32 v10, v1, v10
	v_fma_f16 v14, v14, s1, v17
	v_fma_f16 v6, v6, s0, v18
	v_fma_f16 v9, v9, 2.0, -v2
	v_fma_f16 v1, v1, 2.0, -v10
	;; [unrolled: 1-line block ×4, first 2 shown]
	v_pack_b32_f16 v8, v8, v15
	v_pack_b32_f16 v3, v11, v3
	ds_write2_b32 v33, v8, v3 offset1:17
	v_pack_b32_f16 v1, v9, v1
	v_pack_b32_f16 v3, v5, v13
	ds_write2_b32 v33, v1, v3 offset0:34 offset1:51
	v_pack_b32_f16 v0, v16, v0
	v_pack_b32_f16 v1, v4, v12
	ds_write2_b32 v33, v0, v1 offset0:68 offset1:85
	;; [unrolled: 3-line block ×3, first 2 shown]
	s_waitcnt lgkmcnt(0)
	s_barrier
	s_and_b64 exec, exec, vcc
	s_cbranch_execz .LBB0_15
; %bb.14:
	global_load_dword v8, v25, s[6:7]
	v_mad_u64_u32 v[1:2], s[0:1], s10, v7, 0
	v_mad_u64_u32 v[3:4], s[0:1], s8, v24, 0
	ds_read_b32 v9, v35
	s_mov_b32 s14, 0x1e1e1e1e
	v_mad_u64_u32 v[5:6], s[0:1], s11, v7, v[2:3]
	s_mov_b32 s15, 0x3f7e1e1e
	v_mov_b32_e32 v10, s13
	v_mad_u64_u32 v[6:7], s[0:1], s9, v24, v[4:5]
	s_waitcnt lgkmcnt(0)
	v_lshrrev_b32_e32 v7, 16, v9
	v_mov_b32_e32 v2, v5
	v_mov_b32_e32 v4, v6
	v_lshlrev_b64 v[1:2], 2, v[1:2]
	v_lshlrev_b64 v[3:4], 2, v[3:4]
	v_add_co_u32_e32 v1, vcc, s12, v1
	v_addc_co_u32_e32 v2, vcc, v10, v2, vcc
	s_movk_i32 s16, 0x1ff
	v_add_co_u32_e32 v3, vcc, v1, v3
	v_addc_co_u32_e32 v4, vcc, v2, v4, vcc
	s_movk_i32 s10, 0xffe
	v_mov_b32_e32 v0, 0x7c00
	s_movk_i32 s18, 0x40f
	s_mov_b32 s17, 0x8000
	s_waitcnt vmcnt(0)
	v_mul_f16_sdwa v5, v7, v8 dst_sel:DWORD dst_unused:UNUSED_PAD src0_sel:DWORD src1_sel:WORD_1
	v_fma_f16 v5, v9, v8, v5
	v_mul_f16_sdwa v6, v9, v8 dst_sel:DWORD dst_unused:UNUSED_PAD src0_sel:DWORD src1_sel:WORD_1
	v_cvt_f32_f16_e32 v5, v5
	v_fma_f16 v6, v8, v7, -v6
	v_cvt_f32_f16_e32 v7, v6
	v_cvt_f64_f32_e32 v[5:6], v5
	v_cvt_f64_f32_e32 v[7:8], v7
	v_mul_f64 v[5:6], v[5:6], s[14:15]
	v_mul_f64 v[7:8], v[7:8], s[14:15]
	v_and_or_b32 v5, v6, s16, v5
	v_cmp_ne_u32_e32 vcc, 0, v5
	v_and_or_b32 v7, v8, s16, v7
	v_lshrrev_b32_e32 v9, 8, v6
	v_bfe_u32 v10, v6, 20, 11
	v_cndmask_b32_e64 v5, 0, 1, vcc
	v_cmp_ne_u32_e32 vcc, 0, v7
	v_lshrrev_b32_e32 v11, 8, v8
	v_bfe_u32 v12, v8, 20, 11
	v_sub_u32_e32 v13, 0x3f1, v10
	v_cndmask_b32_e64 v7, 0, 1, vcc
	v_and_or_b32 v5, v9, s10, v5
	v_sub_u32_e32 v14, 0x3f1, v12
	v_med3_i32 v9, v13, 0, 13
	v_and_or_b32 v7, v11, s10, v7
	v_or_b32_e32 v13, 0x1000, v5
	v_add_u32_e32 v10, 0xfffffc10, v10
	v_med3_i32 v11, v14, 0, 13
	v_cmp_ne_u32_e32 vcc, 0, v5
	v_or_b32_e32 v15, 0x1000, v7
	v_lshrrev_b32_e32 v17, v9, v13
	v_add_u32_e32 v12, 0xfffffc10, v12
	v_lshl_or_b32 v14, v10, 12, v5
	v_cndmask_b32_e64 v5, 0, 1, vcc
	v_cmp_ne_u32_e32 vcc, 0, v7
	v_lshrrev_b32_e32 v18, v11, v15
	v_lshlrev_b32_e32 v9, v9, v17
	v_lshl_or_b32 v16, v12, 12, v7
	v_cndmask_b32_e64 v7, 0, 1, vcc
	v_lshlrev_b32_e32 v11, v11, v18
	v_cmp_ne_u32_e32 vcc, v9, v13
	v_cndmask_b32_e64 v9, 0, 1, vcc
	v_cmp_ne_u32_e32 vcc, v11, v15
	v_cndmask_b32_e64 v11, 0, 1, vcc
	v_or_b32_e32 v9, v17, v9
	v_cmp_gt_i32_e32 vcc, 1, v10
	v_cndmask_b32_e32 v9, v14, v9, vcc
	v_or_b32_e32 v11, v18, v11
	v_cmp_gt_i32_e32 vcc, 1, v12
	v_and_b32_e32 v13, 7, v9
	v_cndmask_b32_e32 v11, v16, v11, vcc
	v_cmp_lt_i32_e32 vcc, 5, v13
	v_cmp_eq_u32_e64 s[0:1], 3, v13
	v_lshrrev_b32_e32 v9, 2, v9
	v_and_b32_e32 v14, 7, v11
	s_or_b64 vcc, s[0:1], vcc
	v_cmp_lt_i32_e64 s[2:3], 5, v14
	v_cmp_eq_u32_e64 s[4:5], 3, v14
	v_addc_co_u32_e32 v9, vcc, 0, v9, vcc
	v_lshrrev_b32_e32 v11, 2, v11
	s_or_b64 vcc, s[4:5], s[2:3]
	v_addc_co_u32_e32 v11, vcc, 0, v11, vcc
	v_cmp_gt_i32_e32 vcc, 31, v10
	v_cndmask_b32_e32 v9, v0, v9, vcc
	v_cmp_gt_i32_e32 vcc, 31, v12
	v_lshl_or_b32 v5, v5, 9, v0
	v_cndmask_b32_e32 v11, v0, v11, vcc
	v_cmp_eq_u32_e32 vcc, s18, v10
	v_lshrrev_b32_e32 v6, 16, v6
	v_lshl_or_b32 v7, v7, 9, v0
	v_cndmask_b32_e32 v5, v9, v5, vcc
	v_cmp_eq_u32_e32 vcc, s18, v12
	v_lshrrev_b32_e32 v8, 16, v8
	v_cndmask_b32_e32 v7, v11, v7, vcc
	v_and_or_b32 v5, v6, s17, v5
	v_and_or_b32 v6, v8, s17, v7
	v_and_b32_e32 v5, 0xffff, v5
	v_lshl_or_b32 v5, v6, 16, v5
	global_store_dword v[3:4], v5, off
	global_load_dword v7, v25, s[6:7] offset:32
	ds_read2_b32 v[3:4], v33 offset0:8 offset1:16
	v_mad_u64_u32 v[5:6], s[0:1], s8, v34, 0
	s_waitcnt lgkmcnt(0)
	v_lshrrev_b32_e32 v8, 16, v3
	s_waitcnt vmcnt(0)
	v_mul_f16_sdwa v9, v8, v7 dst_sel:DWORD dst_unused:UNUSED_PAD src0_sel:DWORD src1_sel:WORD_1
	v_fma_f16 v9, v3, v7, v9
	v_cvt_f32_f16_e32 v9, v9
	v_mul_f16_sdwa v3, v3, v7 dst_sel:DWORD dst_unused:UNUSED_PAD src0_sel:DWORD src1_sel:WORD_1
	v_fma_f16 v3, v7, v8, -v3
	v_cvt_f32_f16_e32 v3, v3
	v_cvt_f64_f32_e32 v[7:8], v9
	v_mad_u64_u32 v[9:10], s[0:1], s9, v34, v[6:7]
	v_cvt_f64_f32_e32 v[10:11], v3
	v_mul_f64 v[7:8], v[7:8], s[14:15]
	v_mov_b32_e32 v6, v9
	v_lshlrev_b64 v[5:6], 2, v[5:6]
	v_mul_f64 v[9:10], v[10:11], s[14:15]
	v_add_co_u32_e32 v5, vcc, v1, v5
	v_addc_co_u32_e32 v6, vcc, v2, v6, vcc
	v_and_or_b32 v3, v8, s16, v7
	v_cmp_ne_u32_e32 vcc, 0, v3
	v_lshrrev_b32_e32 v7, 8, v8
	v_and_or_b32 v9, v10, s16, v9
	v_bfe_u32 v11, v8, 20, 11
	v_cndmask_b32_e64 v3, 0, 1, vcc
	v_cmp_ne_u32_e32 vcc, 0, v9
	v_lshrrev_b32_e32 v12, 8, v10
	v_bfe_u32 v13, v10, 20, 11
	v_sub_u32_e32 v14, 0x3f1, v11
	v_cndmask_b32_e64 v9, 0, 1, vcc
	v_and_or_b32 v3, v7, s10, v3
	v_sub_u32_e32 v15, 0x3f1, v13
	v_med3_i32 v7, v14, 0, 13
	v_and_or_b32 v9, v12, s10, v9
	v_or_b32_e32 v14, 0x1000, v3
	v_add_u32_e32 v11, 0xfffffc10, v11
	v_med3_i32 v12, v15, 0, 13
	v_cmp_ne_u32_e32 vcc, 0, v3
	v_or_b32_e32 v16, 0x1000, v9
	v_lshrrev_b32_e32 v18, v7, v14
	v_add_u32_e32 v13, 0xfffffc10, v13
	v_lshl_or_b32 v15, v11, 12, v3
	v_cndmask_b32_e64 v3, 0, 1, vcc
	v_cmp_ne_u32_e32 vcc, 0, v9
	v_lshrrev_b32_e32 v19, v12, v16
	v_lshlrev_b32_e32 v7, v7, v18
	v_lshl_or_b32 v17, v13, 12, v9
	v_cndmask_b32_e64 v9, 0, 1, vcc
	v_lshlrev_b32_e32 v12, v12, v19
	v_cmp_ne_u32_e32 vcc, v7, v14
	v_cndmask_b32_e64 v7, 0, 1, vcc
	v_cmp_ne_u32_e32 vcc, v12, v16
	v_cndmask_b32_e64 v12, 0, 1, vcc
	v_or_b32_e32 v7, v18, v7
	v_cmp_gt_i32_e32 vcc, 1, v11
	v_cndmask_b32_e32 v7, v15, v7, vcc
	v_or_b32_e32 v12, v19, v12
	v_cmp_gt_i32_e32 vcc, 1, v13
	v_and_b32_e32 v14, 7, v7
	v_cndmask_b32_e32 v12, v17, v12, vcc
	v_cmp_lt_i32_e32 vcc, 5, v14
	v_cmp_eq_u32_e64 s[0:1], 3, v14
	v_lshrrev_b32_e32 v7, 2, v7
	v_and_b32_e32 v15, 7, v12
	s_or_b64 vcc, s[0:1], vcc
	v_cmp_lt_i32_e64 s[2:3], 5, v15
	v_cmp_eq_u32_e64 s[4:5], 3, v15
	v_addc_co_u32_e32 v7, vcc, 0, v7, vcc
	v_lshrrev_b32_e32 v12, 2, v12
	s_or_b64 vcc, s[4:5], s[2:3]
	v_addc_co_u32_e32 v12, vcc, 0, v12, vcc
	v_cmp_gt_i32_e32 vcc, 31, v11
	v_cndmask_b32_e32 v7, v0, v7, vcc
	v_cmp_gt_i32_e32 vcc, 31, v13
	v_lshl_or_b32 v3, v3, 9, v0
	v_cndmask_b32_e32 v12, v0, v12, vcc
	v_cmp_eq_u32_e32 vcc, s18, v11
	v_lshrrev_b32_e32 v8, 16, v8
	v_lshl_or_b32 v9, v9, 9, v0
	v_cndmask_b32_e32 v3, v7, v3, vcc
	v_cmp_eq_u32_e32 vcc, s18, v13
	v_lshrrev_b32_e32 v10, 16, v10
	v_cndmask_b32_e32 v7, v12, v9, vcc
	v_and_or_b32 v3, v8, s17, v3
	v_and_or_b32 v7, v10, s17, v7
	v_and_b32_e32 v3, 0xffff, v3
	v_lshl_or_b32 v3, v7, 16, v3
	global_store_dword v[5:6], v3, off
	global_load_dword v7, v25, s[6:7] offset:64
	v_mad_u64_u32 v[5:6], s[0:1], s8, v32, 0
	v_mov_b32_e32 v3, v6
	v_lshrrev_b32_e32 v6, 16, v4
	s_waitcnt vmcnt(0)
	v_mul_f16_sdwa v8, v6, v7 dst_sel:DWORD dst_unused:UNUSED_PAD src0_sel:DWORD src1_sel:WORD_1
	v_fma_f16 v8, v4, v7, v8
	v_mul_f16_sdwa v4, v4, v7 dst_sel:DWORD dst_unused:UNUSED_PAD src0_sel:DWORD src1_sel:WORD_1
	v_cvt_f32_f16_e32 v8, v8
	v_fma_f16 v4, v7, v6, -v4
	v_cvt_f32_f16_e32 v9, v4
	v_mad_u64_u32 v[3:4], s[0:1], s9, v32, v[3:4]
	v_cvt_f64_f32_e32 v[6:7], v8
	v_cvt_f64_f32_e32 v[8:9], v9
	v_mul_f64 v[10:11], v[6:7], s[14:15]
	v_mov_b32_e32 v6, v3
	v_lshlrev_b64 v[3:4], 2, v[5:6]
	v_mul_f64 v[5:6], v[8:9], s[14:15]
	v_add_co_u32_e32 v3, vcc, v1, v3
	v_addc_co_u32_e32 v4, vcc, v2, v4, vcc
	v_and_or_b32 v7, v11, s16, v10
	v_cmp_ne_u32_e32 vcc, 0, v7
	v_lshrrev_b32_e32 v8, 8, v11
	v_and_or_b32 v5, v6, s16, v5
	v_bfe_u32 v9, v11, 20, 11
	v_cndmask_b32_e64 v7, 0, 1, vcc
	v_cmp_ne_u32_e32 vcc, 0, v5
	v_lshrrev_b32_e32 v10, 16, v11
	v_lshrrev_b32_e32 v11, 8, v6
	v_bfe_u32 v12, v6, 20, 11
	v_sub_u32_e32 v13, 0x3f1, v9
	v_cndmask_b32_e64 v5, 0, 1, vcc
	v_and_or_b32 v7, v8, s10, v7
	v_sub_u32_e32 v14, 0x3f1, v12
	v_med3_i32 v8, v13, 0, 13
	v_and_or_b32 v5, v11, s10, v5
	v_or_b32_e32 v13, 0x1000, v7
	v_add_u32_e32 v9, 0xfffffc10, v9
	v_med3_i32 v11, v14, 0, 13
	v_cmp_ne_u32_e32 vcc, 0, v7
	v_or_b32_e32 v15, 0x1000, v5
	v_lshrrev_b32_e32 v17, v8, v13
	v_add_u32_e32 v12, 0xfffffc10, v12
	v_lshl_or_b32 v14, v9, 12, v7
	v_cndmask_b32_e64 v7, 0, 1, vcc
	v_cmp_ne_u32_e32 vcc, 0, v5
	v_lshrrev_b32_e32 v18, v11, v15
	v_lshlrev_b32_e32 v8, v8, v17
	v_lshl_or_b32 v16, v12, 12, v5
	v_cndmask_b32_e64 v5, 0, 1, vcc
	v_lshlrev_b32_e32 v11, v11, v18
	v_cmp_ne_u32_e32 vcc, v8, v13
	v_cndmask_b32_e64 v8, 0, 1, vcc
	v_cmp_ne_u32_e32 vcc, v11, v15
	v_cndmask_b32_e64 v11, 0, 1, vcc
	v_or_b32_e32 v8, v17, v8
	v_cmp_gt_i32_e32 vcc, 1, v9
	v_cndmask_b32_e32 v8, v14, v8, vcc
	v_or_b32_e32 v11, v18, v11
	v_cmp_gt_i32_e32 vcc, 1, v12
	v_and_b32_e32 v13, 7, v8
	v_cndmask_b32_e32 v11, v16, v11, vcc
	v_cmp_lt_i32_e32 vcc, 5, v13
	v_cmp_eq_u32_e64 s[0:1], 3, v13
	v_lshrrev_b32_e32 v8, 2, v8
	v_and_b32_e32 v14, 7, v11
	s_or_b64 vcc, s[0:1], vcc
	v_cmp_lt_i32_e64 s[2:3], 5, v14
	v_cmp_eq_u32_e64 s[4:5], 3, v14
	v_addc_co_u32_e32 v8, vcc, 0, v8, vcc
	v_lshrrev_b32_e32 v11, 2, v11
	s_or_b64 vcc, s[4:5], s[2:3]
	v_addc_co_u32_e32 v11, vcc, 0, v11, vcc
	v_cmp_gt_i32_e32 vcc, 31, v9
	v_cndmask_b32_e32 v8, v0, v8, vcc
	v_cmp_gt_i32_e32 vcc, 31, v12
	v_lshl_or_b32 v7, v7, 9, v0
	v_cndmask_b32_e32 v11, v0, v11, vcc
	v_cmp_eq_u32_e32 vcc, s18, v9
	v_lshl_or_b32 v5, v5, 9, v0
	v_cndmask_b32_e32 v7, v8, v7, vcc
	v_cmp_eq_u32_e32 vcc, s18, v12
	v_lshrrev_b32_e32 v6, 16, v6
	v_cndmask_b32_e32 v5, v11, v5, vcc
	v_and_or_b32 v7, v10, s17, v7
	v_and_or_b32 v5, v6, s17, v5
	v_and_b32_e32 v6, 0xffff, v7
	v_lshl_or_b32 v5, v5, 16, v6
	global_store_dword v[3:4], v5, off
	global_load_dword v7, v25, s[6:7] offset:96
	ds_read2_b32 v[3:4], v33 offset0:24 offset1:32
	v_mad_u64_u32 v[5:6], s[0:1], s8, v31, 0
	s_waitcnt lgkmcnt(0)
	v_lshrrev_b32_e32 v8, 16, v3
	s_waitcnt vmcnt(0)
	v_mul_f16_sdwa v9, v8, v7 dst_sel:DWORD dst_unused:UNUSED_PAD src0_sel:DWORD src1_sel:WORD_1
	v_fma_f16 v9, v3, v7, v9
	v_cvt_f32_f16_e32 v9, v9
	v_mul_f16_sdwa v3, v3, v7 dst_sel:DWORD dst_unused:UNUSED_PAD src0_sel:DWORD src1_sel:WORD_1
	v_fma_f16 v3, v7, v8, -v3
	v_cvt_f32_f16_e32 v3, v3
	v_cvt_f64_f32_e32 v[7:8], v9
	v_mad_u64_u32 v[9:10], s[0:1], s9, v31, v[6:7]
	v_cvt_f64_f32_e32 v[10:11], v3
	v_mul_f64 v[7:8], v[7:8], s[14:15]
	v_mov_b32_e32 v6, v9
	v_lshlrev_b64 v[5:6], 2, v[5:6]
	v_mul_f64 v[9:10], v[10:11], s[14:15]
	v_add_co_u32_e32 v5, vcc, v1, v5
	v_addc_co_u32_e32 v6, vcc, v2, v6, vcc
	v_and_or_b32 v3, v8, s16, v7
	v_cmp_ne_u32_e32 vcc, 0, v3
	v_lshrrev_b32_e32 v7, 8, v8
	v_and_or_b32 v9, v10, s16, v9
	v_bfe_u32 v11, v8, 20, 11
	v_cndmask_b32_e64 v3, 0, 1, vcc
	v_cmp_ne_u32_e32 vcc, 0, v9
	v_lshrrev_b32_e32 v12, 8, v10
	v_bfe_u32 v13, v10, 20, 11
	v_sub_u32_e32 v14, 0x3f1, v11
	v_cndmask_b32_e64 v9, 0, 1, vcc
	v_and_or_b32 v3, v7, s10, v3
	v_sub_u32_e32 v15, 0x3f1, v13
	v_med3_i32 v7, v14, 0, 13
	v_and_or_b32 v9, v12, s10, v9
	v_or_b32_e32 v14, 0x1000, v3
	v_add_u32_e32 v11, 0xfffffc10, v11
	v_med3_i32 v12, v15, 0, 13
	v_cmp_ne_u32_e32 vcc, 0, v3
	v_or_b32_e32 v16, 0x1000, v9
	v_lshrrev_b32_e32 v18, v7, v14
	v_add_u32_e32 v13, 0xfffffc10, v13
	v_lshl_or_b32 v15, v11, 12, v3
	v_cndmask_b32_e64 v3, 0, 1, vcc
	v_cmp_ne_u32_e32 vcc, 0, v9
	v_lshrrev_b32_e32 v19, v12, v16
	v_lshlrev_b32_e32 v7, v7, v18
	v_lshl_or_b32 v17, v13, 12, v9
	v_cndmask_b32_e64 v9, 0, 1, vcc
	v_lshlrev_b32_e32 v12, v12, v19
	v_cmp_ne_u32_e32 vcc, v7, v14
	v_cndmask_b32_e64 v7, 0, 1, vcc
	v_cmp_ne_u32_e32 vcc, v12, v16
	v_cndmask_b32_e64 v12, 0, 1, vcc
	v_or_b32_e32 v7, v18, v7
	v_cmp_gt_i32_e32 vcc, 1, v11
	v_cndmask_b32_e32 v7, v15, v7, vcc
	v_or_b32_e32 v12, v19, v12
	v_cmp_gt_i32_e32 vcc, 1, v13
	v_and_b32_e32 v14, 7, v7
	v_cndmask_b32_e32 v12, v17, v12, vcc
	v_cmp_lt_i32_e32 vcc, 5, v14
	v_cmp_eq_u32_e64 s[0:1], 3, v14
	v_lshrrev_b32_e32 v7, 2, v7
	v_and_b32_e32 v15, 7, v12
	s_or_b64 vcc, s[0:1], vcc
	v_cmp_lt_i32_e64 s[2:3], 5, v15
	v_cmp_eq_u32_e64 s[4:5], 3, v15
	v_addc_co_u32_e32 v7, vcc, 0, v7, vcc
	v_lshrrev_b32_e32 v12, 2, v12
	s_or_b64 vcc, s[4:5], s[2:3]
	v_addc_co_u32_e32 v12, vcc, 0, v12, vcc
	v_cmp_gt_i32_e32 vcc, 31, v11
	v_cndmask_b32_e32 v7, v0, v7, vcc
	v_cmp_gt_i32_e32 vcc, 31, v13
	v_lshl_or_b32 v3, v3, 9, v0
	v_cndmask_b32_e32 v12, v0, v12, vcc
	v_cmp_eq_u32_e32 vcc, s18, v11
	v_lshrrev_b32_e32 v8, 16, v8
	v_lshl_or_b32 v9, v9, 9, v0
	v_cndmask_b32_e32 v3, v7, v3, vcc
	v_cmp_eq_u32_e32 vcc, s18, v13
	v_lshrrev_b32_e32 v10, 16, v10
	v_cndmask_b32_e32 v7, v12, v9, vcc
	v_and_or_b32 v3, v8, s17, v3
	v_and_or_b32 v7, v10, s17, v7
	v_and_b32_e32 v3, 0xffff, v3
	v_lshl_or_b32 v3, v7, 16, v3
	global_store_dword v[5:6], v3, off
	global_load_dword v7, v25, s[6:7] offset:128
	v_mad_u64_u32 v[5:6], s[0:1], s8, v30, 0
	v_mov_b32_e32 v3, v6
	v_lshrrev_b32_e32 v6, 16, v4
	s_waitcnt vmcnt(0)
	v_mul_f16_sdwa v8, v6, v7 dst_sel:DWORD dst_unused:UNUSED_PAD src0_sel:DWORD src1_sel:WORD_1
	v_fma_f16 v8, v4, v7, v8
	v_mul_f16_sdwa v4, v4, v7 dst_sel:DWORD dst_unused:UNUSED_PAD src0_sel:DWORD src1_sel:WORD_1
	v_cvt_f32_f16_e32 v8, v8
	v_fma_f16 v4, v7, v6, -v4
	v_cvt_f32_f16_e32 v9, v4
	v_mad_u64_u32 v[3:4], s[0:1], s9, v30, v[3:4]
	v_cvt_f64_f32_e32 v[6:7], v8
	v_cvt_f64_f32_e32 v[8:9], v9
	v_mul_f64 v[10:11], v[6:7], s[14:15]
	v_mov_b32_e32 v6, v3
	v_lshlrev_b64 v[3:4], 2, v[5:6]
	v_mul_f64 v[5:6], v[8:9], s[14:15]
	v_add_co_u32_e32 v3, vcc, v1, v3
	v_addc_co_u32_e32 v4, vcc, v2, v4, vcc
	v_and_or_b32 v7, v11, s16, v10
	v_cmp_ne_u32_e32 vcc, 0, v7
	v_lshrrev_b32_e32 v8, 8, v11
	v_and_or_b32 v5, v6, s16, v5
	v_bfe_u32 v9, v11, 20, 11
	v_cndmask_b32_e64 v7, 0, 1, vcc
	v_cmp_ne_u32_e32 vcc, 0, v5
	v_lshrrev_b32_e32 v10, 16, v11
	v_lshrrev_b32_e32 v11, 8, v6
	v_bfe_u32 v12, v6, 20, 11
	v_sub_u32_e32 v13, 0x3f1, v9
	v_cndmask_b32_e64 v5, 0, 1, vcc
	v_and_or_b32 v7, v8, s10, v7
	v_sub_u32_e32 v14, 0x3f1, v12
	v_med3_i32 v8, v13, 0, 13
	v_and_or_b32 v5, v11, s10, v5
	v_or_b32_e32 v13, 0x1000, v7
	v_add_u32_e32 v9, 0xfffffc10, v9
	v_med3_i32 v11, v14, 0, 13
	v_cmp_ne_u32_e32 vcc, 0, v7
	v_or_b32_e32 v15, 0x1000, v5
	v_lshrrev_b32_e32 v17, v8, v13
	v_add_u32_e32 v12, 0xfffffc10, v12
	v_lshl_or_b32 v14, v9, 12, v7
	v_cndmask_b32_e64 v7, 0, 1, vcc
	v_cmp_ne_u32_e32 vcc, 0, v5
	v_lshrrev_b32_e32 v18, v11, v15
	v_lshlrev_b32_e32 v8, v8, v17
	v_lshl_or_b32 v16, v12, 12, v5
	v_cndmask_b32_e64 v5, 0, 1, vcc
	v_lshlrev_b32_e32 v11, v11, v18
	v_cmp_ne_u32_e32 vcc, v8, v13
	v_cndmask_b32_e64 v8, 0, 1, vcc
	v_cmp_ne_u32_e32 vcc, v11, v15
	v_cndmask_b32_e64 v11, 0, 1, vcc
	v_or_b32_e32 v8, v17, v8
	v_cmp_gt_i32_e32 vcc, 1, v9
	v_cndmask_b32_e32 v8, v14, v8, vcc
	v_or_b32_e32 v11, v18, v11
	v_cmp_gt_i32_e32 vcc, 1, v12
	v_and_b32_e32 v13, 7, v8
	v_cndmask_b32_e32 v11, v16, v11, vcc
	v_cmp_lt_i32_e32 vcc, 5, v13
	v_cmp_eq_u32_e64 s[0:1], 3, v13
	v_lshrrev_b32_e32 v8, 2, v8
	v_and_b32_e32 v14, 7, v11
	s_or_b64 vcc, s[0:1], vcc
	v_cmp_lt_i32_e64 s[2:3], 5, v14
	v_cmp_eq_u32_e64 s[4:5], 3, v14
	v_addc_co_u32_e32 v8, vcc, 0, v8, vcc
	v_lshrrev_b32_e32 v11, 2, v11
	s_or_b64 vcc, s[4:5], s[2:3]
	v_addc_co_u32_e32 v11, vcc, 0, v11, vcc
	v_cmp_gt_i32_e32 vcc, 31, v9
	v_cndmask_b32_e32 v8, v0, v8, vcc
	v_cmp_gt_i32_e32 vcc, 31, v12
	v_lshl_or_b32 v7, v7, 9, v0
	v_cndmask_b32_e32 v11, v0, v11, vcc
	v_cmp_eq_u32_e32 vcc, s18, v9
	v_lshl_or_b32 v5, v5, 9, v0
	v_cndmask_b32_e32 v7, v8, v7, vcc
	v_cmp_eq_u32_e32 vcc, s18, v12
	v_lshrrev_b32_e32 v6, 16, v6
	v_cndmask_b32_e32 v5, v11, v5, vcc
	v_and_or_b32 v7, v10, s17, v7
	v_and_or_b32 v5, v6, s17, v5
	v_and_b32_e32 v6, 0xffff, v7
	v_lshl_or_b32 v5, v5, 16, v6
	global_store_dword v[3:4], v5, off
	global_load_dword v7, v25, s[6:7] offset:160
	ds_read2_b32 v[3:4], v33 offset0:40 offset1:48
	v_mad_u64_u32 v[5:6], s[0:1], s8, v29, 0
	s_waitcnt lgkmcnt(0)
	v_lshrrev_b32_e32 v8, 16, v3
	s_waitcnt vmcnt(0)
	v_mul_f16_sdwa v9, v8, v7 dst_sel:DWORD dst_unused:UNUSED_PAD src0_sel:DWORD src1_sel:WORD_1
	v_fma_f16 v9, v3, v7, v9
	v_cvt_f32_f16_e32 v9, v9
	v_mul_f16_sdwa v3, v3, v7 dst_sel:DWORD dst_unused:UNUSED_PAD src0_sel:DWORD src1_sel:WORD_1
	v_fma_f16 v3, v7, v8, -v3
	v_cvt_f32_f16_e32 v3, v3
	v_cvt_f64_f32_e32 v[7:8], v9
	v_mad_u64_u32 v[9:10], s[0:1], s9, v29, v[6:7]
	v_cvt_f64_f32_e32 v[10:11], v3
	v_mul_f64 v[7:8], v[7:8], s[14:15]
	v_mov_b32_e32 v6, v9
	v_lshlrev_b64 v[5:6], 2, v[5:6]
	v_mul_f64 v[9:10], v[10:11], s[14:15]
	v_add_co_u32_e32 v5, vcc, v1, v5
	v_addc_co_u32_e32 v6, vcc, v2, v6, vcc
	v_and_or_b32 v3, v8, s16, v7
	v_cmp_ne_u32_e32 vcc, 0, v3
	v_lshrrev_b32_e32 v7, 8, v8
	v_and_or_b32 v9, v10, s16, v9
	v_bfe_u32 v11, v8, 20, 11
	v_cndmask_b32_e64 v3, 0, 1, vcc
	v_cmp_ne_u32_e32 vcc, 0, v9
	v_lshrrev_b32_e32 v12, 8, v10
	v_bfe_u32 v13, v10, 20, 11
	v_sub_u32_e32 v14, 0x3f1, v11
	v_cndmask_b32_e64 v9, 0, 1, vcc
	v_and_or_b32 v3, v7, s10, v3
	v_sub_u32_e32 v15, 0x3f1, v13
	v_med3_i32 v7, v14, 0, 13
	v_and_or_b32 v9, v12, s10, v9
	v_or_b32_e32 v14, 0x1000, v3
	v_add_u32_e32 v11, 0xfffffc10, v11
	v_med3_i32 v12, v15, 0, 13
	v_cmp_ne_u32_e32 vcc, 0, v3
	v_or_b32_e32 v16, 0x1000, v9
	v_lshrrev_b32_e32 v18, v7, v14
	v_add_u32_e32 v13, 0xfffffc10, v13
	v_lshl_or_b32 v15, v11, 12, v3
	v_cndmask_b32_e64 v3, 0, 1, vcc
	v_cmp_ne_u32_e32 vcc, 0, v9
	v_lshrrev_b32_e32 v19, v12, v16
	v_lshlrev_b32_e32 v7, v7, v18
	v_lshl_or_b32 v17, v13, 12, v9
	v_cndmask_b32_e64 v9, 0, 1, vcc
	v_lshlrev_b32_e32 v12, v12, v19
	v_cmp_ne_u32_e32 vcc, v7, v14
	v_cndmask_b32_e64 v7, 0, 1, vcc
	v_cmp_ne_u32_e32 vcc, v12, v16
	v_cndmask_b32_e64 v12, 0, 1, vcc
	v_or_b32_e32 v7, v18, v7
	v_cmp_gt_i32_e32 vcc, 1, v11
	v_cndmask_b32_e32 v7, v15, v7, vcc
	v_or_b32_e32 v12, v19, v12
	v_cmp_gt_i32_e32 vcc, 1, v13
	v_and_b32_e32 v14, 7, v7
	v_cndmask_b32_e32 v12, v17, v12, vcc
	v_cmp_lt_i32_e32 vcc, 5, v14
	v_cmp_eq_u32_e64 s[0:1], 3, v14
	v_lshrrev_b32_e32 v7, 2, v7
	v_and_b32_e32 v15, 7, v12
	s_or_b64 vcc, s[0:1], vcc
	v_cmp_lt_i32_e64 s[2:3], 5, v15
	v_cmp_eq_u32_e64 s[4:5], 3, v15
	v_addc_co_u32_e32 v7, vcc, 0, v7, vcc
	v_lshrrev_b32_e32 v12, 2, v12
	s_or_b64 vcc, s[4:5], s[2:3]
	v_addc_co_u32_e32 v12, vcc, 0, v12, vcc
	v_cmp_gt_i32_e32 vcc, 31, v11
	v_cndmask_b32_e32 v7, v0, v7, vcc
	v_cmp_gt_i32_e32 vcc, 31, v13
	v_lshl_or_b32 v3, v3, 9, v0
	v_cndmask_b32_e32 v12, v0, v12, vcc
	v_cmp_eq_u32_e32 vcc, s18, v11
	v_lshrrev_b32_e32 v8, 16, v8
	v_lshl_or_b32 v9, v9, 9, v0
	v_cndmask_b32_e32 v3, v7, v3, vcc
	v_cmp_eq_u32_e32 vcc, s18, v13
	v_lshrrev_b32_e32 v10, 16, v10
	v_cndmask_b32_e32 v7, v12, v9, vcc
	v_and_or_b32 v3, v8, s17, v3
	v_and_or_b32 v7, v10, s17, v7
	v_and_b32_e32 v3, 0xffff, v3
	v_lshl_or_b32 v3, v7, 16, v3
	global_store_dword v[5:6], v3, off
	global_load_dword v7, v25, s[6:7] offset:192
	v_mad_u64_u32 v[5:6], s[0:1], s8, v28, 0
	v_mov_b32_e32 v3, v6
	v_lshrrev_b32_e32 v6, 16, v4
	s_waitcnt vmcnt(0)
	v_mul_f16_sdwa v8, v6, v7 dst_sel:DWORD dst_unused:UNUSED_PAD src0_sel:DWORD src1_sel:WORD_1
	v_fma_f16 v8, v4, v7, v8
	v_mul_f16_sdwa v4, v4, v7 dst_sel:DWORD dst_unused:UNUSED_PAD src0_sel:DWORD src1_sel:WORD_1
	v_cvt_f32_f16_e32 v8, v8
	v_fma_f16 v4, v7, v6, -v4
	v_cvt_f32_f16_e32 v9, v4
	v_mad_u64_u32 v[3:4], s[0:1], s9, v28, v[3:4]
	v_cvt_f64_f32_e32 v[6:7], v8
	v_cvt_f64_f32_e32 v[8:9], v9
	v_mul_f64 v[10:11], v[6:7], s[14:15]
	v_mov_b32_e32 v6, v3
	v_lshlrev_b64 v[3:4], 2, v[5:6]
	v_mul_f64 v[5:6], v[8:9], s[14:15]
	v_add_co_u32_e32 v3, vcc, v1, v3
	v_addc_co_u32_e32 v4, vcc, v2, v4, vcc
	v_and_or_b32 v7, v11, s16, v10
	v_cmp_ne_u32_e32 vcc, 0, v7
	v_lshrrev_b32_e32 v8, 8, v11
	v_and_or_b32 v5, v6, s16, v5
	v_bfe_u32 v9, v11, 20, 11
	v_cndmask_b32_e64 v7, 0, 1, vcc
	v_cmp_ne_u32_e32 vcc, 0, v5
	v_lshrrev_b32_e32 v10, 16, v11
	v_lshrrev_b32_e32 v11, 8, v6
	v_bfe_u32 v12, v6, 20, 11
	v_sub_u32_e32 v13, 0x3f1, v9
	v_cndmask_b32_e64 v5, 0, 1, vcc
	v_and_or_b32 v7, v8, s10, v7
	v_sub_u32_e32 v14, 0x3f1, v12
	v_med3_i32 v8, v13, 0, 13
	v_and_or_b32 v5, v11, s10, v5
	v_or_b32_e32 v13, 0x1000, v7
	v_add_u32_e32 v9, 0xfffffc10, v9
	v_med3_i32 v11, v14, 0, 13
	v_cmp_ne_u32_e32 vcc, 0, v7
	v_or_b32_e32 v15, 0x1000, v5
	v_lshrrev_b32_e32 v17, v8, v13
	v_add_u32_e32 v12, 0xfffffc10, v12
	v_lshl_or_b32 v14, v9, 12, v7
	v_cndmask_b32_e64 v7, 0, 1, vcc
	v_cmp_ne_u32_e32 vcc, 0, v5
	v_lshrrev_b32_e32 v18, v11, v15
	v_lshlrev_b32_e32 v8, v8, v17
	v_lshl_or_b32 v16, v12, 12, v5
	v_cndmask_b32_e64 v5, 0, 1, vcc
	v_lshlrev_b32_e32 v11, v11, v18
	v_cmp_ne_u32_e32 vcc, v8, v13
	v_cndmask_b32_e64 v8, 0, 1, vcc
	v_cmp_ne_u32_e32 vcc, v11, v15
	v_cndmask_b32_e64 v11, 0, 1, vcc
	v_or_b32_e32 v8, v17, v8
	v_cmp_gt_i32_e32 vcc, 1, v9
	v_cndmask_b32_e32 v8, v14, v8, vcc
	v_or_b32_e32 v11, v18, v11
	v_cmp_gt_i32_e32 vcc, 1, v12
	v_and_b32_e32 v13, 7, v8
	v_cndmask_b32_e32 v11, v16, v11, vcc
	v_cmp_lt_i32_e32 vcc, 5, v13
	v_cmp_eq_u32_e64 s[0:1], 3, v13
	v_lshrrev_b32_e32 v8, 2, v8
	v_and_b32_e32 v14, 7, v11
	s_or_b64 vcc, s[0:1], vcc
	v_cmp_lt_i32_e64 s[2:3], 5, v14
	v_cmp_eq_u32_e64 s[4:5], 3, v14
	v_addc_co_u32_e32 v8, vcc, 0, v8, vcc
	v_lshrrev_b32_e32 v11, 2, v11
	s_or_b64 vcc, s[4:5], s[2:3]
	v_addc_co_u32_e32 v11, vcc, 0, v11, vcc
	v_cmp_gt_i32_e32 vcc, 31, v9
	v_cndmask_b32_e32 v8, v0, v8, vcc
	v_cmp_gt_i32_e32 vcc, 31, v12
	v_lshl_or_b32 v7, v7, 9, v0
	v_cndmask_b32_e32 v11, v0, v11, vcc
	v_cmp_eq_u32_e32 vcc, s18, v9
	v_lshl_or_b32 v5, v5, 9, v0
	v_cndmask_b32_e32 v7, v8, v7, vcc
	v_cmp_eq_u32_e32 vcc, s18, v12
	v_lshrrev_b32_e32 v6, 16, v6
	v_cndmask_b32_e32 v5, v11, v5, vcc
	v_and_or_b32 v7, v10, s17, v7
	v_and_or_b32 v5, v6, s17, v5
	v_and_b32_e32 v6, 0xffff, v7
	v_lshl_or_b32 v5, v5, 16, v6
	global_store_dword v[3:4], v5, off
	global_load_dword v7, v25, s[6:7] offset:224
	ds_read2_b32 v[3:4], v33 offset0:56 offset1:64
	v_mad_u64_u32 v[5:6], s[0:1], s8, v27, 0
	s_waitcnt lgkmcnt(0)
	v_lshrrev_b32_e32 v8, 16, v3
	s_waitcnt vmcnt(0)
	v_mul_f16_sdwa v9, v8, v7 dst_sel:DWORD dst_unused:UNUSED_PAD src0_sel:DWORD src1_sel:WORD_1
	v_fma_f16 v9, v3, v7, v9
	v_cvt_f32_f16_e32 v9, v9
	v_mul_f16_sdwa v3, v3, v7 dst_sel:DWORD dst_unused:UNUSED_PAD src0_sel:DWORD src1_sel:WORD_1
	v_fma_f16 v3, v7, v8, -v3
	v_cvt_f32_f16_e32 v3, v3
	v_cvt_f64_f32_e32 v[7:8], v9
	v_mad_u64_u32 v[9:10], s[0:1], s9, v27, v[6:7]
	v_cvt_f64_f32_e32 v[10:11], v3
	v_mul_f64 v[7:8], v[7:8], s[14:15]
	v_mov_b32_e32 v6, v9
	v_lshlrev_b64 v[5:6], 2, v[5:6]
	v_mul_f64 v[9:10], v[10:11], s[14:15]
	v_add_co_u32_e32 v5, vcc, v1, v5
	v_addc_co_u32_e32 v6, vcc, v2, v6, vcc
	v_and_or_b32 v3, v8, s16, v7
	v_cmp_ne_u32_e32 vcc, 0, v3
	v_lshrrev_b32_e32 v7, 8, v8
	v_and_or_b32 v9, v10, s16, v9
	v_bfe_u32 v11, v8, 20, 11
	v_cndmask_b32_e64 v3, 0, 1, vcc
	v_cmp_ne_u32_e32 vcc, 0, v9
	v_lshrrev_b32_e32 v12, 8, v10
	v_bfe_u32 v13, v10, 20, 11
	v_sub_u32_e32 v14, 0x3f1, v11
	v_cndmask_b32_e64 v9, 0, 1, vcc
	v_and_or_b32 v3, v7, s10, v3
	v_sub_u32_e32 v15, 0x3f1, v13
	v_med3_i32 v7, v14, 0, 13
	v_and_or_b32 v9, v12, s10, v9
	v_or_b32_e32 v14, 0x1000, v3
	v_add_u32_e32 v11, 0xfffffc10, v11
	v_med3_i32 v12, v15, 0, 13
	v_cmp_ne_u32_e32 vcc, 0, v3
	v_or_b32_e32 v16, 0x1000, v9
	v_lshrrev_b32_e32 v18, v7, v14
	v_add_u32_e32 v13, 0xfffffc10, v13
	v_lshl_or_b32 v15, v11, 12, v3
	v_cndmask_b32_e64 v3, 0, 1, vcc
	v_cmp_ne_u32_e32 vcc, 0, v9
	v_lshrrev_b32_e32 v19, v12, v16
	v_lshlrev_b32_e32 v7, v7, v18
	v_lshl_or_b32 v17, v13, 12, v9
	v_cndmask_b32_e64 v9, 0, 1, vcc
	v_lshlrev_b32_e32 v12, v12, v19
	v_cmp_ne_u32_e32 vcc, v7, v14
	v_cndmask_b32_e64 v7, 0, 1, vcc
	v_cmp_ne_u32_e32 vcc, v12, v16
	v_cndmask_b32_e64 v12, 0, 1, vcc
	v_or_b32_e32 v7, v18, v7
	v_cmp_gt_i32_e32 vcc, 1, v11
	v_cndmask_b32_e32 v7, v15, v7, vcc
	v_or_b32_e32 v12, v19, v12
	v_cmp_gt_i32_e32 vcc, 1, v13
	v_and_b32_e32 v14, 7, v7
	v_cndmask_b32_e32 v12, v17, v12, vcc
	v_cmp_lt_i32_e32 vcc, 5, v14
	v_cmp_eq_u32_e64 s[0:1], 3, v14
	v_lshrrev_b32_e32 v7, 2, v7
	v_and_b32_e32 v15, 7, v12
	s_or_b64 vcc, s[0:1], vcc
	v_cmp_lt_i32_e64 s[2:3], 5, v15
	v_cmp_eq_u32_e64 s[4:5], 3, v15
	v_addc_co_u32_e32 v7, vcc, 0, v7, vcc
	v_lshrrev_b32_e32 v12, 2, v12
	s_or_b64 vcc, s[4:5], s[2:3]
	v_addc_co_u32_e32 v12, vcc, 0, v12, vcc
	v_cmp_gt_i32_e32 vcc, 31, v11
	v_cndmask_b32_e32 v7, v0, v7, vcc
	v_cmp_gt_i32_e32 vcc, 31, v13
	v_lshl_or_b32 v3, v3, 9, v0
	v_cndmask_b32_e32 v12, v0, v12, vcc
	v_cmp_eq_u32_e32 vcc, s18, v11
	v_lshrrev_b32_e32 v8, 16, v8
	v_lshl_or_b32 v9, v9, 9, v0
	v_cndmask_b32_e32 v3, v7, v3, vcc
	v_cmp_eq_u32_e32 vcc, s18, v13
	v_lshrrev_b32_e32 v10, 16, v10
	v_cndmask_b32_e32 v7, v12, v9, vcc
	v_and_or_b32 v3, v8, s17, v3
	v_and_or_b32 v7, v10, s17, v7
	v_and_b32_e32 v3, 0xffff, v3
	v_lshl_or_b32 v3, v7, 16, v3
	global_store_dword v[5:6], v3, off
	global_load_dword v7, v25, s[6:7] offset:256
	v_mad_u64_u32 v[5:6], s[0:1], s8, v26, 0
	v_mov_b32_e32 v3, v6
	v_lshrrev_b32_e32 v6, 16, v4
	s_waitcnt vmcnt(0)
	v_mul_f16_sdwa v8, v6, v7 dst_sel:DWORD dst_unused:UNUSED_PAD src0_sel:DWORD src1_sel:WORD_1
	v_fma_f16 v8, v4, v7, v8
	v_mul_f16_sdwa v4, v4, v7 dst_sel:DWORD dst_unused:UNUSED_PAD src0_sel:DWORD src1_sel:WORD_1
	v_cvt_f32_f16_e32 v8, v8
	v_fma_f16 v4, v7, v6, -v4
	v_cvt_f32_f16_e32 v9, v4
	v_mad_u64_u32 v[3:4], s[0:1], s9, v26, v[3:4]
	v_cvt_f64_f32_e32 v[6:7], v8
	v_cvt_f64_f32_e32 v[8:9], v9
	v_mul_f64 v[10:11], v[6:7], s[14:15]
	v_mov_b32_e32 v6, v3
	v_lshlrev_b64 v[3:4], 2, v[5:6]
	v_mul_f64 v[5:6], v[8:9], s[14:15]
	v_add_co_u32_e32 v3, vcc, v1, v3
	v_addc_co_u32_e32 v4, vcc, v2, v4, vcc
	v_and_or_b32 v7, v11, s16, v10
	v_cmp_ne_u32_e32 vcc, 0, v7
	v_lshrrev_b32_e32 v8, 8, v11
	v_and_or_b32 v5, v6, s16, v5
	v_bfe_u32 v9, v11, 20, 11
	v_cndmask_b32_e64 v7, 0, 1, vcc
	v_cmp_ne_u32_e32 vcc, 0, v5
	v_lshrrev_b32_e32 v10, 16, v11
	v_lshrrev_b32_e32 v11, 8, v6
	v_bfe_u32 v12, v6, 20, 11
	v_sub_u32_e32 v13, 0x3f1, v9
	v_cndmask_b32_e64 v5, 0, 1, vcc
	v_and_or_b32 v7, v8, s10, v7
	v_sub_u32_e32 v14, 0x3f1, v12
	v_med3_i32 v8, v13, 0, 13
	v_and_or_b32 v5, v11, s10, v5
	v_or_b32_e32 v13, 0x1000, v7
	v_add_u32_e32 v9, 0xfffffc10, v9
	v_med3_i32 v11, v14, 0, 13
	v_cmp_ne_u32_e32 vcc, 0, v7
	v_or_b32_e32 v15, 0x1000, v5
	v_lshrrev_b32_e32 v17, v8, v13
	v_add_u32_e32 v12, 0xfffffc10, v12
	v_lshl_or_b32 v14, v9, 12, v7
	v_cndmask_b32_e64 v7, 0, 1, vcc
	v_cmp_ne_u32_e32 vcc, 0, v5
	v_lshrrev_b32_e32 v18, v11, v15
	v_lshlrev_b32_e32 v8, v8, v17
	v_lshl_or_b32 v16, v12, 12, v5
	v_cndmask_b32_e64 v5, 0, 1, vcc
	v_lshlrev_b32_e32 v11, v11, v18
	v_cmp_ne_u32_e32 vcc, v8, v13
	v_cndmask_b32_e64 v8, 0, 1, vcc
	v_cmp_ne_u32_e32 vcc, v11, v15
	v_cndmask_b32_e64 v11, 0, 1, vcc
	v_or_b32_e32 v8, v17, v8
	v_cmp_gt_i32_e32 vcc, 1, v9
	v_cndmask_b32_e32 v8, v14, v8, vcc
	v_or_b32_e32 v11, v18, v11
	v_cmp_gt_i32_e32 vcc, 1, v12
	v_and_b32_e32 v13, 7, v8
	v_cndmask_b32_e32 v11, v16, v11, vcc
	v_cmp_lt_i32_e32 vcc, 5, v13
	v_cmp_eq_u32_e64 s[0:1], 3, v13
	v_lshrrev_b32_e32 v8, 2, v8
	v_and_b32_e32 v14, 7, v11
	s_or_b64 vcc, s[0:1], vcc
	v_cmp_lt_i32_e64 s[2:3], 5, v14
	v_cmp_eq_u32_e64 s[4:5], 3, v14
	v_addc_co_u32_e32 v8, vcc, 0, v8, vcc
	v_lshrrev_b32_e32 v11, 2, v11
	s_or_b64 vcc, s[4:5], s[2:3]
	v_addc_co_u32_e32 v11, vcc, 0, v11, vcc
	v_cmp_gt_i32_e32 vcc, 31, v9
	v_cndmask_b32_e32 v8, v0, v8, vcc
	v_cmp_gt_i32_e32 vcc, 31, v12
	v_lshl_or_b32 v7, v7, 9, v0
	v_cndmask_b32_e32 v11, v0, v11, vcc
	v_cmp_eq_u32_e32 vcc, s18, v9
	v_lshl_or_b32 v5, v5, 9, v0
	v_cndmask_b32_e32 v7, v8, v7, vcc
	v_cmp_eq_u32_e32 vcc, s18, v12
	v_lshrrev_b32_e32 v6, 16, v6
	v_cndmask_b32_e32 v5, v11, v5, vcc
	v_and_or_b32 v7, v10, s17, v7
	v_and_or_b32 v5, v6, s17, v5
	v_and_b32_e32 v6, 0xffff, v7
	v_lshl_or_b32 v5, v5, 16, v6
	global_store_dword v[3:4], v5, off
	global_load_dword v7, v25, s[6:7] offset:288
	ds_read2_b32 v[3:4], v33 offset0:72 offset1:80
	v_or_b32_e32 v9, 0x48, v24
	v_mad_u64_u32 v[5:6], s[0:1], s8, v9, 0
	s_waitcnt lgkmcnt(0)
	v_lshrrev_b32_e32 v8, 16, v3
	s_waitcnt vmcnt(0)
	v_mul_f16_sdwa v10, v8, v7 dst_sel:DWORD dst_unused:UNUSED_PAD src0_sel:DWORD src1_sel:WORD_1
	v_fma_f16 v10, v3, v7, v10
	v_cvt_f32_f16_e32 v10, v10
	v_mul_f16_sdwa v3, v3, v7 dst_sel:DWORD dst_unused:UNUSED_PAD src0_sel:DWORD src1_sel:WORD_1
	v_fma_f16 v3, v7, v8, -v3
	v_cvt_f32_f16_e32 v3, v3
	v_cvt_f64_f32_e32 v[7:8], v10
	v_mad_u64_u32 v[9:10], s[0:1], s9, v9, v[6:7]
	v_cvt_f64_f32_e32 v[10:11], v3
	v_mul_f64 v[7:8], v[7:8], s[14:15]
	v_mov_b32_e32 v6, v9
	v_lshlrev_b64 v[5:6], 2, v[5:6]
	v_mul_f64 v[9:10], v[10:11], s[14:15]
	v_add_co_u32_e32 v5, vcc, v1, v5
	v_addc_co_u32_e32 v6, vcc, v2, v6, vcc
	v_and_or_b32 v3, v8, s16, v7
	v_cmp_ne_u32_e32 vcc, 0, v3
	v_lshrrev_b32_e32 v7, 8, v8
	v_and_or_b32 v9, v10, s16, v9
	v_bfe_u32 v11, v8, 20, 11
	v_cndmask_b32_e64 v3, 0, 1, vcc
	v_cmp_ne_u32_e32 vcc, 0, v9
	v_lshrrev_b32_e32 v12, 8, v10
	v_bfe_u32 v13, v10, 20, 11
	v_sub_u32_e32 v14, 0x3f1, v11
	v_cndmask_b32_e64 v9, 0, 1, vcc
	v_and_or_b32 v3, v7, s10, v3
	v_sub_u32_e32 v15, 0x3f1, v13
	v_med3_i32 v7, v14, 0, 13
	v_and_or_b32 v9, v12, s10, v9
	v_or_b32_e32 v14, 0x1000, v3
	v_add_u32_e32 v11, 0xfffffc10, v11
	v_med3_i32 v12, v15, 0, 13
	v_cmp_ne_u32_e32 vcc, 0, v3
	v_or_b32_e32 v16, 0x1000, v9
	v_lshrrev_b32_e32 v18, v7, v14
	v_add_u32_e32 v13, 0xfffffc10, v13
	v_lshl_or_b32 v15, v11, 12, v3
	v_cndmask_b32_e64 v3, 0, 1, vcc
	v_cmp_ne_u32_e32 vcc, 0, v9
	v_lshrrev_b32_e32 v19, v12, v16
	v_lshlrev_b32_e32 v7, v7, v18
	v_lshl_or_b32 v17, v13, 12, v9
	v_cndmask_b32_e64 v9, 0, 1, vcc
	v_lshlrev_b32_e32 v12, v12, v19
	v_cmp_ne_u32_e32 vcc, v7, v14
	v_cndmask_b32_e64 v7, 0, 1, vcc
	v_cmp_ne_u32_e32 vcc, v12, v16
	v_cndmask_b32_e64 v12, 0, 1, vcc
	v_or_b32_e32 v7, v18, v7
	v_cmp_gt_i32_e32 vcc, 1, v11
	v_cndmask_b32_e32 v7, v15, v7, vcc
	v_or_b32_e32 v12, v19, v12
	v_cmp_gt_i32_e32 vcc, 1, v13
	v_and_b32_e32 v14, 7, v7
	v_cndmask_b32_e32 v12, v17, v12, vcc
	v_cmp_lt_i32_e32 vcc, 5, v14
	v_cmp_eq_u32_e64 s[0:1], 3, v14
	v_lshrrev_b32_e32 v7, 2, v7
	v_and_b32_e32 v15, 7, v12
	s_or_b64 vcc, s[0:1], vcc
	v_cmp_lt_i32_e64 s[2:3], 5, v15
	v_cmp_eq_u32_e64 s[4:5], 3, v15
	v_addc_co_u32_e32 v7, vcc, 0, v7, vcc
	v_lshrrev_b32_e32 v12, 2, v12
	s_or_b64 vcc, s[4:5], s[2:3]
	v_addc_co_u32_e32 v12, vcc, 0, v12, vcc
	v_cmp_gt_i32_e32 vcc, 31, v11
	v_cndmask_b32_e32 v7, v0, v7, vcc
	v_cmp_gt_i32_e32 vcc, 31, v13
	v_lshl_or_b32 v3, v3, 9, v0
	v_cndmask_b32_e32 v12, v0, v12, vcc
	v_cmp_eq_u32_e32 vcc, s18, v11
	v_lshrrev_b32_e32 v8, 16, v8
	v_lshl_or_b32 v9, v9, 9, v0
	v_cndmask_b32_e32 v3, v7, v3, vcc
	v_cmp_eq_u32_e32 vcc, s18, v13
	v_lshrrev_b32_e32 v10, 16, v10
	v_cndmask_b32_e32 v7, v12, v9, vcc
	v_and_or_b32 v3, v8, s17, v3
	v_and_or_b32 v7, v10, s17, v7
	v_and_b32_e32 v3, 0xffff, v3
	v_lshl_or_b32 v3, v7, 16, v3
	global_store_dword v[5:6], v3, off
	global_load_dword v7, v25, s[6:7] offset:320
	v_or_b32_e32 v8, 0x50, v24
	v_mad_u64_u32 v[5:6], s[0:1], s8, v8, 0
	v_lshrrev_b32_e32 v9, 16, v4
	v_mov_b32_e32 v3, v6
	s_waitcnt vmcnt(0)
	v_mul_f16_sdwa v6, v9, v7 dst_sel:DWORD dst_unused:UNUSED_PAD src0_sel:DWORD src1_sel:WORD_1
	v_fma_f16 v6, v4, v7, v6
	v_mul_f16_sdwa v4, v4, v7 dst_sel:DWORD dst_unused:UNUSED_PAD src0_sel:DWORD src1_sel:WORD_1
	v_cvt_f32_f16_e32 v6, v6
	v_fma_f16 v4, v7, v9, -v4
	v_cvt_f32_f16_e32 v9, v4
	v_mad_u64_u32 v[3:4], s[0:1], s9, v8, v[3:4]
	v_cvt_f64_f32_e32 v[6:7], v6
	v_cvt_f64_f32_e32 v[8:9], v9
	v_mul_f64 v[10:11], v[6:7], s[14:15]
	v_mov_b32_e32 v6, v3
	v_lshlrev_b64 v[3:4], 2, v[5:6]
	v_mul_f64 v[5:6], v[8:9], s[14:15]
	v_add_co_u32_e32 v3, vcc, v1, v3
	v_addc_co_u32_e32 v4, vcc, v2, v4, vcc
	v_and_or_b32 v7, v11, s16, v10
	v_cmp_ne_u32_e32 vcc, 0, v7
	v_lshrrev_b32_e32 v8, 8, v11
	v_and_or_b32 v5, v6, s16, v5
	v_bfe_u32 v9, v11, 20, 11
	v_cndmask_b32_e64 v7, 0, 1, vcc
	v_cmp_ne_u32_e32 vcc, 0, v5
	v_lshrrev_b32_e32 v10, 16, v11
	v_lshrrev_b32_e32 v11, 8, v6
	v_bfe_u32 v12, v6, 20, 11
	v_sub_u32_e32 v13, 0x3f1, v9
	v_cndmask_b32_e64 v5, 0, 1, vcc
	v_and_or_b32 v7, v8, s10, v7
	v_sub_u32_e32 v14, 0x3f1, v12
	v_med3_i32 v8, v13, 0, 13
	v_and_or_b32 v5, v11, s10, v5
	v_or_b32_e32 v13, 0x1000, v7
	v_add_u32_e32 v9, 0xfffffc10, v9
	v_med3_i32 v11, v14, 0, 13
	v_cmp_ne_u32_e32 vcc, 0, v7
	v_or_b32_e32 v15, 0x1000, v5
	v_lshrrev_b32_e32 v17, v8, v13
	v_add_u32_e32 v12, 0xfffffc10, v12
	v_lshl_or_b32 v14, v9, 12, v7
	v_cndmask_b32_e64 v7, 0, 1, vcc
	v_cmp_ne_u32_e32 vcc, 0, v5
	v_lshrrev_b32_e32 v18, v11, v15
	v_lshlrev_b32_e32 v8, v8, v17
	v_lshl_or_b32 v16, v12, 12, v5
	v_cndmask_b32_e64 v5, 0, 1, vcc
	v_lshlrev_b32_e32 v11, v11, v18
	v_cmp_ne_u32_e32 vcc, v8, v13
	v_cndmask_b32_e64 v8, 0, 1, vcc
	v_cmp_ne_u32_e32 vcc, v11, v15
	v_cndmask_b32_e64 v11, 0, 1, vcc
	v_or_b32_e32 v8, v17, v8
	v_cmp_gt_i32_e32 vcc, 1, v9
	v_cndmask_b32_e32 v8, v14, v8, vcc
	v_or_b32_e32 v11, v18, v11
	v_cmp_gt_i32_e32 vcc, 1, v12
	v_and_b32_e32 v13, 7, v8
	v_cndmask_b32_e32 v11, v16, v11, vcc
	v_cmp_lt_i32_e32 vcc, 5, v13
	v_cmp_eq_u32_e64 s[0:1], 3, v13
	v_lshrrev_b32_e32 v8, 2, v8
	v_and_b32_e32 v14, 7, v11
	s_or_b64 vcc, s[0:1], vcc
	v_cmp_lt_i32_e64 s[2:3], 5, v14
	v_cmp_eq_u32_e64 s[4:5], 3, v14
	v_addc_co_u32_e32 v8, vcc, 0, v8, vcc
	v_lshrrev_b32_e32 v11, 2, v11
	s_or_b64 vcc, s[4:5], s[2:3]
	v_addc_co_u32_e32 v11, vcc, 0, v11, vcc
	v_cmp_gt_i32_e32 vcc, 31, v9
	v_cndmask_b32_e32 v8, v0, v8, vcc
	v_cmp_gt_i32_e32 vcc, 31, v12
	v_lshl_or_b32 v7, v7, 9, v0
	v_cndmask_b32_e32 v11, v0, v11, vcc
	v_cmp_eq_u32_e32 vcc, s18, v9
	v_lshl_or_b32 v5, v5, 9, v0
	v_cndmask_b32_e32 v7, v8, v7, vcc
	v_cmp_eq_u32_e32 vcc, s18, v12
	v_lshrrev_b32_e32 v6, 16, v6
	v_cndmask_b32_e32 v5, v11, v5, vcc
	v_and_or_b32 v7, v10, s17, v7
	v_and_or_b32 v5, v6, s17, v5
	v_and_b32_e32 v6, 0xffff, v7
	v_lshl_or_b32 v5, v5, 16, v6
	global_store_dword v[3:4], v5, off
	global_load_dword v7, v25, s[6:7] offset:352
	ds_read2_b32 v[3:4], v33 offset0:88 offset1:96
	v_or_b32_e32 v9, 0x58, v24
	v_mad_u64_u32 v[5:6], s[0:1], s8, v9, 0
	s_waitcnt lgkmcnt(0)
	v_lshrrev_b32_e32 v8, 16, v3
	s_waitcnt vmcnt(0)
	v_mul_f16_sdwa v10, v8, v7 dst_sel:DWORD dst_unused:UNUSED_PAD src0_sel:DWORD src1_sel:WORD_1
	v_fma_f16 v10, v3, v7, v10
	v_cvt_f32_f16_e32 v10, v10
	v_mul_f16_sdwa v3, v3, v7 dst_sel:DWORD dst_unused:UNUSED_PAD src0_sel:DWORD src1_sel:WORD_1
	v_fma_f16 v3, v7, v8, -v3
	v_cvt_f32_f16_e32 v3, v3
	v_cvt_f64_f32_e32 v[7:8], v10
	v_mad_u64_u32 v[9:10], s[0:1], s9, v9, v[6:7]
	v_cvt_f64_f32_e32 v[10:11], v3
	v_mul_f64 v[7:8], v[7:8], s[14:15]
	v_mov_b32_e32 v6, v9
	v_lshlrev_b64 v[5:6], 2, v[5:6]
	v_mul_f64 v[9:10], v[10:11], s[14:15]
	v_add_co_u32_e32 v5, vcc, v1, v5
	v_addc_co_u32_e32 v6, vcc, v2, v6, vcc
	v_and_or_b32 v3, v8, s16, v7
	v_cmp_ne_u32_e32 vcc, 0, v3
	v_lshrrev_b32_e32 v7, 8, v8
	v_and_or_b32 v9, v10, s16, v9
	v_bfe_u32 v11, v8, 20, 11
	v_cndmask_b32_e64 v3, 0, 1, vcc
	v_cmp_ne_u32_e32 vcc, 0, v9
	v_lshrrev_b32_e32 v12, 8, v10
	v_bfe_u32 v13, v10, 20, 11
	v_sub_u32_e32 v14, 0x3f1, v11
	v_cndmask_b32_e64 v9, 0, 1, vcc
	v_and_or_b32 v3, v7, s10, v3
	v_sub_u32_e32 v15, 0x3f1, v13
	v_med3_i32 v7, v14, 0, 13
	v_and_or_b32 v9, v12, s10, v9
	v_or_b32_e32 v14, 0x1000, v3
	v_add_u32_e32 v11, 0xfffffc10, v11
	v_med3_i32 v12, v15, 0, 13
	v_cmp_ne_u32_e32 vcc, 0, v3
	v_or_b32_e32 v16, 0x1000, v9
	v_lshrrev_b32_e32 v18, v7, v14
	v_add_u32_e32 v13, 0xfffffc10, v13
	v_lshl_or_b32 v15, v11, 12, v3
	v_cndmask_b32_e64 v3, 0, 1, vcc
	v_cmp_ne_u32_e32 vcc, 0, v9
	v_lshrrev_b32_e32 v19, v12, v16
	v_lshlrev_b32_e32 v7, v7, v18
	v_lshl_or_b32 v17, v13, 12, v9
	v_cndmask_b32_e64 v9, 0, 1, vcc
	v_lshlrev_b32_e32 v12, v12, v19
	v_cmp_ne_u32_e32 vcc, v7, v14
	v_cndmask_b32_e64 v7, 0, 1, vcc
	v_cmp_ne_u32_e32 vcc, v12, v16
	v_cndmask_b32_e64 v12, 0, 1, vcc
	v_or_b32_e32 v7, v18, v7
	v_cmp_gt_i32_e32 vcc, 1, v11
	v_cndmask_b32_e32 v7, v15, v7, vcc
	v_or_b32_e32 v12, v19, v12
	v_cmp_gt_i32_e32 vcc, 1, v13
	v_and_b32_e32 v14, 7, v7
	v_cndmask_b32_e32 v12, v17, v12, vcc
	v_cmp_lt_i32_e32 vcc, 5, v14
	v_cmp_eq_u32_e64 s[0:1], 3, v14
	v_lshrrev_b32_e32 v7, 2, v7
	v_and_b32_e32 v15, 7, v12
	s_or_b64 vcc, s[0:1], vcc
	v_cmp_lt_i32_e64 s[2:3], 5, v15
	v_cmp_eq_u32_e64 s[4:5], 3, v15
	v_addc_co_u32_e32 v7, vcc, 0, v7, vcc
	v_lshrrev_b32_e32 v12, 2, v12
	s_or_b64 vcc, s[4:5], s[2:3]
	v_addc_co_u32_e32 v12, vcc, 0, v12, vcc
	v_cmp_gt_i32_e32 vcc, 31, v11
	v_cndmask_b32_e32 v7, v0, v7, vcc
	v_cmp_gt_i32_e32 vcc, 31, v13
	v_lshl_or_b32 v3, v3, 9, v0
	v_cndmask_b32_e32 v12, v0, v12, vcc
	v_cmp_eq_u32_e32 vcc, s18, v11
	v_lshrrev_b32_e32 v8, 16, v8
	v_lshl_or_b32 v9, v9, 9, v0
	v_cndmask_b32_e32 v3, v7, v3, vcc
	v_cmp_eq_u32_e32 vcc, s18, v13
	v_lshrrev_b32_e32 v10, 16, v10
	v_cndmask_b32_e32 v7, v12, v9, vcc
	v_and_or_b32 v3, v8, s17, v3
	v_and_or_b32 v7, v10, s17, v7
	v_and_b32_e32 v3, 0xffff, v3
	v_lshl_or_b32 v3, v7, 16, v3
	global_store_dword v[5:6], v3, off
	global_load_dword v7, v25, s[6:7] offset:384
	v_or_b32_e32 v8, 0x60, v24
	v_mad_u64_u32 v[5:6], s[0:1], s8, v8, 0
	v_lshrrev_b32_e32 v9, 16, v4
	v_mov_b32_e32 v3, v6
	s_waitcnt vmcnt(0)
	v_mul_f16_sdwa v6, v9, v7 dst_sel:DWORD dst_unused:UNUSED_PAD src0_sel:DWORD src1_sel:WORD_1
	v_fma_f16 v6, v4, v7, v6
	v_mul_f16_sdwa v4, v4, v7 dst_sel:DWORD dst_unused:UNUSED_PAD src0_sel:DWORD src1_sel:WORD_1
	v_cvt_f32_f16_e32 v6, v6
	v_fma_f16 v4, v7, v9, -v4
	v_cvt_f32_f16_e32 v9, v4
	v_mad_u64_u32 v[3:4], s[0:1], s9, v8, v[3:4]
	v_cvt_f64_f32_e32 v[6:7], v6
	v_cvt_f64_f32_e32 v[8:9], v9
	v_mul_f64 v[10:11], v[6:7], s[14:15]
	v_mov_b32_e32 v6, v3
	v_lshlrev_b64 v[3:4], 2, v[5:6]
	v_mul_f64 v[5:6], v[8:9], s[14:15]
	v_add_co_u32_e32 v3, vcc, v1, v3
	v_addc_co_u32_e32 v4, vcc, v2, v4, vcc
	v_and_or_b32 v7, v11, s16, v10
	v_cmp_ne_u32_e32 vcc, 0, v7
	v_lshrrev_b32_e32 v8, 8, v11
	v_and_or_b32 v5, v6, s16, v5
	v_bfe_u32 v9, v11, 20, 11
	v_cndmask_b32_e64 v7, 0, 1, vcc
	v_cmp_ne_u32_e32 vcc, 0, v5
	v_lshrrev_b32_e32 v10, 16, v11
	v_lshrrev_b32_e32 v11, 8, v6
	v_bfe_u32 v12, v6, 20, 11
	v_sub_u32_e32 v13, 0x3f1, v9
	v_cndmask_b32_e64 v5, 0, 1, vcc
	v_and_or_b32 v7, v8, s10, v7
	v_sub_u32_e32 v14, 0x3f1, v12
	v_med3_i32 v8, v13, 0, 13
	v_and_or_b32 v5, v11, s10, v5
	v_or_b32_e32 v13, 0x1000, v7
	v_add_u32_e32 v9, 0xfffffc10, v9
	v_med3_i32 v11, v14, 0, 13
	v_cmp_ne_u32_e32 vcc, 0, v7
	v_or_b32_e32 v15, 0x1000, v5
	v_lshrrev_b32_e32 v17, v8, v13
	v_add_u32_e32 v12, 0xfffffc10, v12
	v_lshl_or_b32 v14, v9, 12, v7
	v_cndmask_b32_e64 v7, 0, 1, vcc
	v_cmp_ne_u32_e32 vcc, 0, v5
	v_lshrrev_b32_e32 v18, v11, v15
	v_lshlrev_b32_e32 v8, v8, v17
	v_lshl_or_b32 v16, v12, 12, v5
	v_cndmask_b32_e64 v5, 0, 1, vcc
	v_lshlrev_b32_e32 v11, v11, v18
	v_cmp_ne_u32_e32 vcc, v8, v13
	v_cndmask_b32_e64 v8, 0, 1, vcc
	v_cmp_ne_u32_e32 vcc, v11, v15
	v_cndmask_b32_e64 v11, 0, 1, vcc
	v_or_b32_e32 v8, v17, v8
	v_cmp_gt_i32_e32 vcc, 1, v9
	v_cndmask_b32_e32 v8, v14, v8, vcc
	v_or_b32_e32 v11, v18, v11
	v_cmp_gt_i32_e32 vcc, 1, v12
	v_and_b32_e32 v13, 7, v8
	v_cndmask_b32_e32 v11, v16, v11, vcc
	v_cmp_lt_i32_e32 vcc, 5, v13
	v_cmp_eq_u32_e64 s[0:1], 3, v13
	v_lshrrev_b32_e32 v8, 2, v8
	v_and_b32_e32 v14, 7, v11
	s_or_b64 vcc, s[0:1], vcc
	v_cmp_lt_i32_e64 s[2:3], 5, v14
	v_cmp_eq_u32_e64 s[4:5], 3, v14
	v_addc_co_u32_e32 v8, vcc, 0, v8, vcc
	v_lshrrev_b32_e32 v11, 2, v11
	s_or_b64 vcc, s[4:5], s[2:3]
	v_addc_co_u32_e32 v11, vcc, 0, v11, vcc
	v_cmp_gt_i32_e32 vcc, 31, v9
	v_cndmask_b32_e32 v8, v0, v8, vcc
	v_cmp_gt_i32_e32 vcc, 31, v12
	v_lshl_or_b32 v7, v7, 9, v0
	v_cndmask_b32_e32 v11, v0, v11, vcc
	v_cmp_eq_u32_e32 vcc, s18, v9
	v_lshl_or_b32 v5, v5, 9, v0
	v_cndmask_b32_e32 v7, v8, v7, vcc
	v_cmp_eq_u32_e32 vcc, s18, v12
	v_lshrrev_b32_e32 v6, 16, v6
	v_cndmask_b32_e32 v5, v11, v5, vcc
	v_and_or_b32 v7, v10, s17, v7
	v_and_or_b32 v5, v6, s17, v5
	v_and_b32_e32 v6, 0xffff, v7
	v_lshl_or_b32 v5, v5, 16, v6
	global_store_dword v[3:4], v5, off
	global_load_dword v7, v25, s[6:7] offset:416
	ds_read2_b32 v[3:4], v33 offset0:104 offset1:112
	v_or_b32_e32 v9, 0x68, v24
	v_mad_u64_u32 v[5:6], s[0:1], s8, v9, 0
	s_waitcnt lgkmcnt(0)
	v_lshrrev_b32_e32 v8, 16, v3
	s_waitcnt vmcnt(0)
	v_mul_f16_sdwa v10, v8, v7 dst_sel:DWORD dst_unused:UNUSED_PAD src0_sel:DWORD src1_sel:WORD_1
	v_fma_f16 v10, v3, v7, v10
	v_cvt_f32_f16_e32 v10, v10
	v_mul_f16_sdwa v3, v3, v7 dst_sel:DWORD dst_unused:UNUSED_PAD src0_sel:DWORD src1_sel:WORD_1
	v_fma_f16 v3, v7, v8, -v3
	v_cvt_f32_f16_e32 v3, v3
	v_cvt_f64_f32_e32 v[7:8], v10
	v_mad_u64_u32 v[9:10], s[0:1], s9, v9, v[6:7]
	v_cvt_f64_f32_e32 v[10:11], v3
	v_mul_f64 v[7:8], v[7:8], s[14:15]
	v_mov_b32_e32 v6, v9
	v_lshlrev_b64 v[5:6], 2, v[5:6]
	v_mul_f64 v[9:10], v[10:11], s[14:15]
	v_add_co_u32_e32 v5, vcc, v1, v5
	v_addc_co_u32_e32 v6, vcc, v2, v6, vcc
	v_and_or_b32 v3, v8, s16, v7
	v_cmp_ne_u32_e32 vcc, 0, v3
	v_lshrrev_b32_e32 v7, 8, v8
	v_and_or_b32 v9, v10, s16, v9
	v_bfe_u32 v11, v8, 20, 11
	v_cndmask_b32_e64 v3, 0, 1, vcc
	v_cmp_ne_u32_e32 vcc, 0, v9
	v_lshrrev_b32_e32 v12, 8, v10
	v_bfe_u32 v13, v10, 20, 11
	v_sub_u32_e32 v14, 0x3f1, v11
	v_cndmask_b32_e64 v9, 0, 1, vcc
	v_and_or_b32 v3, v7, s10, v3
	v_sub_u32_e32 v15, 0x3f1, v13
	v_med3_i32 v7, v14, 0, 13
	v_and_or_b32 v9, v12, s10, v9
	v_or_b32_e32 v14, 0x1000, v3
	v_add_u32_e32 v11, 0xfffffc10, v11
	v_med3_i32 v12, v15, 0, 13
	v_cmp_ne_u32_e32 vcc, 0, v3
	v_or_b32_e32 v16, 0x1000, v9
	v_lshrrev_b32_e32 v18, v7, v14
	v_add_u32_e32 v13, 0xfffffc10, v13
	v_lshl_or_b32 v15, v11, 12, v3
	v_cndmask_b32_e64 v3, 0, 1, vcc
	v_cmp_ne_u32_e32 vcc, 0, v9
	v_lshrrev_b32_e32 v19, v12, v16
	v_lshlrev_b32_e32 v7, v7, v18
	v_lshl_or_b32 v17, v13, 12, v9
	v_cndmask_b32_e64 v9, 0, 1, vcc
	v_lshlrev_b32_e32 v12, v12, v19
	v_cmp_ne_u32_e32 vcc, v7, v14
	v_cndmask_b32_e64 v7, 0, 1, vcc
	v_cmp_ne_u32_e32 vcc, v12, v16
	v_cndmask_b32_e64 v12, 0, 1, vcc
	v_or_b32_e32 v7, v18, v7
	v_cmp_gt_i32_e32 vcc, 1, v11
	v_cndmask_b32_e32 v7, v15, v7, vcc
	v_or_b32_e32 v12, v19, v12
	v_cmp_gt_i32_e32 vcc, 1, v13
	v_and_b32_e32 v14, 7, v7
	v_cndmask_b32_e32 v12, v17, v12, vcc
	v_cmp_lt_i32_e32 vcc, 5, v14
	v_cmp_eq_u32_e64 s[0:1], 3, v14
	v_lshrrev_b32_e32 v7, 2, v7
	v_and_b32_e32 v15, 7, v12
	s_or_b64 vcc, s[0:1], vcc
	v_cmp_lt_i32_e64 s[2:3], 5, v15
	v_cmp_eq_u32_e64 s[4:5], 3, v15
	v_addc_co_u32_e32 v7, vcc, 0, v7, vcc
	v_lshrrev_b32_e32 v12, 2, v12
	s_or_b64 vcc, s[4:5], s[2:3]
	v_addc_co_u32_e32 v12, vcc, 0, v12, vcc
	v_cmp_gt_i32_e32 vcc, 31, v11
	v_cndmask_b32_e32 v7, v0, v7, vcc
	v_cmp_gt_i32_e32 vcc, 31, v13
	v_lshl_or_b32 v3, v3, 9, v0
	v_cndmask_b32_e32 v12, v0, v12, vcc
	v_cmp_eq_u32_e32 vcc, s18, v11
	v_lshrrev_b32_e32 v8, 16, v8
	v_lshl_or_b32 v9, v9, 9, v0
	v_cndmask_b32_e32 v3, v7, v3, vcc
	v_cmp_eq_u32_e32 vcc, s18, v13
	v_lshrrev_b32_e32 v10, 16, v10
	v_cndmask_b32_e32 v7, v12, v9, vcc
	v_and_or_b32 v3, v8, s17, v3
	v_and_or_b32 v7, v10, s17, v7
	v_and_b32_e32 v3, 0xffff, v3
	v_lshl_or_b32 v3, v7, 16, v3
	global_store_dword v[5:6], v3, off
	global_load_dword v7, v25, s[6:7] offset:448
	v_or_b32_e32 v8, 0x70, v24
	v_mad_u64_u32 v[5:6], s[0:1], s8, v8, 0
	v_lshrrev_b32_e32 v9, 16, v4
	v_mov_b32_e32 v3, v6
	s_waitcnt vmcnt(0)
	v_mul_f16_sdwa v6, v9, v7 dst_sel:DWORD dst_unused:UNUSED_PAD src0_sel:DWORD src1_sel:WORD_1
	v_fma_f16 v6, v4, v7, v6
	v_mul_f16_sdwa v4, v4, v7 dst_sel:DWORD dst_unused:UNUSED_PAD src0_sel:DWORD src1_sel:WORD_1
	v_cvt_f32_f16_e32 v6, v6
	v_fma_f16 v4, v7, v9, -v4
	v_cvt_f32_f16_e32 v9, v4
	v_mad_u64_u32 v[3:4], s[0:1], s9, v8, v[3:4]
	v_cvt_f64_f32_e32 v[6:7], v6
	v_cvt_f64_f32_e32 v[8:9], v9
	v_mul_f64 v[10:11], v[6:7], s[14:15]
	v_mov_b32_e32 v6, v3
	v_lshlrev_b64 v[3:4], 2, v[5:6]
	v_mul_f64 v[5:6], v[8:9], s[14:15]
	v_add_co_u32_e32 v3, vcc, v1, v3
	v_addc_co_u32_e32 v4, vcc, v2, v4, vcc
	v_and_or_b32 v7, v11, s16, v10
	v_cmp_ne_u32_e32 vcc, 0, v7
	v_lshrrev_b32_e32 v8, 8, v11
	v_and_or_b32 v5, v6, s16, v5
	v_bfe_u32 v9, v11, 20, 11
	v_cndmask_b32_e64 v7, 0, 1, vcc
	v_cmp_ne_u32_e32 vcc, 0, v5
	v_lshrrev_b32_e32 v10, 16, v11
	v_lshrrev_b32_e32 v11, 8, v6
	v_bfe_u32 v12, v6, 20, 11
	v_sub_u32_e32 v13, 0x3f1, v9
	v_cndmask_b32_e64 v5, 0, 1, vcc
	v_and_or_b32 v7, v8, s10, v7
	v_sub_u32_e32 v14, 0x3f1, v12
	v_med3_i32 v8, v13, 0, 13
	v_and_or_b32 v5, v11, s10, v5
	v_or_b32_e32 v13, 0x1000, v7
	v_add_u32_e32 v9, 0xfffffc10, v9
	v_med3_i32 v11, v14, 0, 13
	v_cmp_ne_u32_e32 vcc, 0, v7
	v_or_b32_e32 v15, 0x1000, v5
	v_lshrrev_b32_e32 v17, v8, v13
	v_add_u32_e32 v12, 0xfffffc10, v12
	v_lshl_or_b32 v14, v9, 12, v7
	v_cndmask_b32_e64 v7, 0, 1, vcc
	v_cmp_ne_u32_e32 vcc, 0, v5
	v_lshrrev_b32_e32 v18, v11, v15
	v_lshlrev_b32_e32 v8, v8, v17
	v_lshl_or_b32 v16, v12, 12, v5
	v_cndmask_b32_e64 v5, 0, 1, vcc
	v_lshlrev_b32_e32 v11, v11, v18
	v_cmp_ne_u32_e32 vcc, v8, v13
	v_cndmask_b32_e64 v8, 0, 1, vcc
	v_cmp_ne_u32_e32 vcc, v11, v15
	v_cndmask_b32_e64 v11, 0, 1, vcc
	v_or_b32_e32 v8, v17, v8
	v_cmp_gt_i32_e32 vcc, 1, v9
	v_cndmask_b32_e32 v8, v14, v8, vcc
	v_or_b32_e32 v11, v18, v11
	v_cmp_gt_i32_e32 vcc, 1, v12
	v_and_b32_e32 v13, 7, v8
	v_cndmask_b32_e32 v11, v16, v11, vcc
	v_cmp_lt_i32_e32 vcc, 5, v13
	v_cmp_eq_u32_e64 s[0:1], 3, v13
	v_lshrrev_b32_e32 v8, 2, v8
	v_and_b32_e32 v14, 7, v11
	s_or_b64 vcc, s[0:1], vcc
	v_cmp_lt_i32_e64 s[2:3], 5, v14
	v_cmp_eq_u32_e64 s[4:5], 3, v14
	v_addc_co_u32_e32 v8, vcc, 0, v8, vcc
	v_lshrrev_b32_e32 v11, 2, v11
	s_or_b64 vcc, s[4:5], s[2:3]
	v_addc_co_u32_e32 v11, vcc, 0, v11, vcc
	v_cmp_gt_i32_e32 vcc, 31, v9
	v_cndmask_b32_e32 v8, v0, v8, vcc
	v_cmp_gt_i32_e32 vcc, 31, v12
	v_lshl_or_b32 v7, v7, 9, v0
	v_cndmask_b32_e32 v11, v0, v11, vcc
	v_cmp_eq_u32_e32 vcc, s18, v9
	v_lshl_or_b32 v5, v5, 9, v0
	v_cndmask_b32_e32 v7, v8, v7, vcc
	v_cmp_eq_u32_e32 vcc, s18, v12
	v_lshrrev_b32_e32 v6, 16, v6
	v_cndmask_b32_e32 v5, v11, v5, vcc
	v_and_or_b32 v7, v10, s17, v7
	v_and_or_b32 v5, v6, s17, v5
	v_and_b32_e32 v6, 0xffff, v7
	v_lshl_or_b32 v5, v5, 16, v6
	global_store_dword v[3:4], v5, off
	global_load_dword v7, v25, s[6:7] offset:480
	ds_read2_b32 v[3:4], v33 offset0:120 offset1:128
	v_or_b32_e32 v9, 0x78, v24
	v_mad_u64_u32 v[5:6], s[0:1], s8, v9, 0
	s_waitcnt lgkmcnt(0)
	v_lshrrev_b32_e32 v8, 16, v3
	s_waitcnt vmcnt(0)
	v_mul_f16_sdwa v10, v8, v7 dst_sel:DWORD dst_unused:UNUSED_PAD src0_sel:DWORD src1_sel:WORD_1
	v_fma_f16 v10, v3, v7, v10
	v_cvt_f32_f16_e32 v10, v10
	v_mul_f16_sdwa v3, v3, v7 dst_sel:DWORD dst_unused:UNUSED_PAD src0_sel:DWORD src1_sel:WORD_1
	v_fma_f16 v3, v7, v8, -v3
	v_cvt_f32_f16_e32 v3, v3
	v_cvt_f64_f32_e32 v[7:8], v10
	v_mad_u64_u32 v[9:10], s[0:1], s9, v9, v[6:7]
	v_cvt_f64_f32_e32 v[10:11], v3
	v_mul_f64 v[7:8], v[7:8], s[14:15]
	v_mov_b32_e32 v6, v9
	v_lshlrev_b64 v[5:6], 2, v[5:6]
	v_mul_f64 v[9:10], v[10:11], s[14:15]
	v_add_co_u32_e32 v5, vcc, v1, v5
	v_addc_co_u32_e32 v6, vcc, v2, v6, vcc
	v_and_or_b32 v3, v8, s16, v7
	v_cmp_ne_u32_e32 vcc, 0, v3
	v_lshrrev_b32_e32 v7, 8, v8
	v_and_or_b32 v9, v10, s16, v9
	v_bfe_u32 v11, v8, 20, 11
	v_cndmask_b32_e64 v3, 0, 1, vcc
	v_cmp_ne_u32_e32 vcc, 0, v9
	v_lshrrev_b32_e32 v12, 8, v10
	v_bfe_u32 v13, v10, 20, 11
	v_sub_u32_e32 v14, 0x3f1, v11
	v_cndmask_b32_e64 v9, 0, 1, vcc
	v_and_or_b32 v3, v7, s10, v3
	v_sub_u32_e32 v15, 0x3f1, v13
	v_med3_i32 v7, v14, 0, 13
	v_and_or_b32 v9, v12, s10, v9
	v_or_b32_e32 v14, 0x1000, v3
	v_add_u32_e32 v11, 0xfffffc10, v11
	v_med3_i32 v12, v15, 0, 13
	v_cmp_ne_u32_e32 vcc, 0, v3
	v_or_b32_e32 v16, 0x1000, v9
	v_lshrrev_b32_e32 v18, v7, v14
	v_add_u32_e32 v13, 0xfffffc10, v13
	v_lshl_or_b32 v15, v11, 12, v3
	v_cndmask_b32_e64 v3, 0, 1, vcc
	v_cmp_ne_u32_e32 vcc, 0, v9
	v_lshrrev_b32_e32 v19, v12, v16
	v_lshlrev_b32_e32 v7, v7, v18
	v_lshl_or_b32 v17, v13, 12, v9
	v_cndmask_b32_e64 v9, 0, 1, vcc
	v_lshlrev_b32_e32 v12, v12, v19
	v_cmp_ne_u32_e32 vcc, v7, v14
	v_cndmask_b32_e64 v7, 0, 1, vcc
	v_cmp_ne_u32_e32 vcc, v12, v16
	v_cndmask_b32_e64 v12, 0, 1, vcc
	v_or_b32_e32 v7, v18, v7
	v_cmp_gt_i32_e32 vcc, 1, v11
	v_cndmask_b32_e32 v7, v15, v7, vcc
	v_or_b32_e32 v12, v19, v12
	v_cmp_gt_i32_e32 vcc, 1, v13
	v_and_b32_e32 v14, 7, v7
	v_cndmask_b32_e32 v12, v17, v12, vcc
	v_cmp_lt_i32_e32 vcc, 5, v14
	v_cmp_eq_u32_e64 s[0:1], 3, v14
	v_lshrrev_b32_e32 v7, 2, v7
	v_and_b32_e32 v15, 7, v12
	s_or_b64 vcc, s[0:1], vcc
	v_cmp_lt_i32_e64 s[2:3], 5, v15
	v_cmp_eq_u32_e64 s[4:5], 3, v15
	v_addc_co_u32_e32 v7, vcc, 0, v7, vcc
	v_lshrrev_b32_e32 v12, 2, v12
	s_or_b64 vcc, s[4:5], s[2:3]
	v_addc_co_u32_e32 v12, vcc, 0, v12, vcc
	v_cmp_gt_i32_e32 vcc, 31, v11
	v_cndmask_b32_e32 v7, v0, v7, vcc
	v_cmp_gt_i32_e32 vcc, 31, v13
	v_lshl_or_b32 v3, v3, 9, v0
	v_cndmask_b32_e32 v12, v0, v12, vcc
	v_cmp_eq_u32_e32 vcc, s18, v11
	v_lshrrev_b32_e32 v8, 16, v8
	v_lshl_or_b32 v9, v9, 9, v0
	v_cndmask_b32_e32 v3, v7, v3, vcc
	v_cmp_eq_u32_e32 vcc, s18, v13
	v_lshrrev_b32_e32 v10, 16, v10
	v_cndmask_b32_e32 v7, v12, v9, vcc
	v_and_or_b32 v3, v8, s17, v3
	v_and_or_b32 v7, v10, s17, v7
	v_and_b32_e32 v3, 0xffff, v3
	v_lshl_or_b32 v3, v7, 16, v3
	global_store_dword v[5:6], v3, off
	global_load_dword v3, v25, s[6:7] offset:512
	v_lshrrev_b32_e32 v7, 16, v4
	v_or_b32_e32 v9, 0x80, v24
	v_mad_u64_u32 v[5:6], s[0:1], s8, v9, 0
	s_waitcnt vmcnt(0)
	v_mul_f16_sdwa v8, v7, v3 dst_sel:DWORD dst_unused:UNUSED_PAD src0_sel:DWORD src1_sel:WORD_1
	v_fma_f16 v8, v4, v3, v8
	v_mul_f16_sdwa v4, v4, v3 dst_sel:DWORD dst_unused:UNUSED_PAD src0_sel:DWORD src1_sel:WORD_1
	v_cvt_f32_f16_e32 v8, v8
	v_fma_f16 v3, v3, v7, -v4
	v_cvt_f32_f16_e32 v7, v3
	v_cvt_f64_f32_e32 v[3:4], v8
	v_cvt_f64_f32_e32 v[7:8], v7
	v_mul_f64 v[3:4], v[3:4], s[14:15]
	v_mad_u64_u32 v[9:10], s[0:1], s9, v9, v[6:7]
	v_mul_f64 v[7:8], v[7:8], s[14:15]
	v_mov_b32_e32 v6, v9
	v_lshlrev_b64 v[5:6], 2, v[5:6]
	v_and_or_b32 v3, v4, s16, v3
	v_cmp_ne_u32_e32 vcc, 0, v3
	v_lshrrev_b32_e32 v9, 8, v4
	v_bfe_u32 v10, v4, 20, 11
	v_and_or_b32 v7, v8, s16, v7
	v_cndmask_b32_e64 v3, 0, 1, vcc
	v_cmp_ne_u32_e32 vcc, 0, v7
	v_lshrrev_b32_e32 v11, 8, v8
	v_bfe_u32 v12, v8, 20, 11
	v_sub_u32_e32 v13, 0x3f1, v10
	v_cndmask_b32_e64 v7, 0, 1, vcc
	v_and_or_b32 v3, v9, s10, v3
	v_sub_u32_e32 v14, 0x3f1, v12
	v_med3_i32 v9, v13, 0, 13
	v_and_or_b32 v7, v11, s10, v7
	v_or_b32_e32 v13, 0x1000, v3
	v_add_u32_e32 v10, 0xfffffc10, v10
	v_med3_i32 v11, v14, 0, 13
	v_cmp_ne_u32_e32 vcc, 0, v3
	v_or_b32_e32 v15, 0x1000, v7
	v_lshrrev_b32_e32 v17, v9, v13
	v_add_u32_e32 v12, 0xfffffc10, v12
	v_lshl_or_b32 v14, v10, 12, v3
	v_cndmask_b32_e64 v3, 0, 1, vcc
	v_cmp_ne_u32_e32 vcc, 0, v7
	v_lshrrev_b32_e32 v18, v11, v15
	v_lshlrev_b32_e32 v9, v9, v17
	v_lshl_or_b32 v16, v12, 12, v7
	v_cndmask_b32_e64 v7, 0, 1, vcc
	v_lshlrev_b32_e32 v11, v11, v18
	v_cmp_ne_u32_e32 vcc, v9, v13
	v_cndmask_b32_e64 v9, 0, 1, vcc
	v_cmp_ne_u32_e32 vcc, v11, v15
	v_cndmask_b32_e64 v11, 0, 1, vcc
	v_or_b32_e32 v9, v17, v9
	v_cmp_gt_i32_e32 vcc, 1, v10
	v_cndmask_b32_e32 v9, v14, v9, vcc
	v_or_b32_e32 v11, v18, v11
	v_cmp_gt_i32_e32 vcc, 1, v12
	v_and_b32_e32 v13, 7, v9
	v_cndmask_b32_e32 v11, v16, v11, vcc
	v_cmp_lt_i32_e32 vcc, 5, v13
	v_cmp_eq_u32_e64 s[0:1], 3, v13
	v_lshrrev_b32_e32 v9, 2, v9
	v_and_b32_e32 v14, 7, v11
	s_or_b64 vcc, s[0:1], vcc
	v_cmp_lt_i32_e64 s[2:3], 5, v14
	v_cmp_eq_u32_e64 s[4:5], 3, v14
	v_addc_co_u32_e32 v9, vcc, 0, v9, vcc
	v_lshrrev_b32_e32 v11, 2, v11
	s_or_b64 vcc, s[4:5], s[2:3]
	v_addc_co_u32_e32 v11, vcc, 0, v11, vcc
	v_cmp_gt_i32_e32 vcc, 31, v10
	v_cndmask_b32_e32 v9, v0, v9, vcc
	v_cmp_gt_i32_e32 vcc, 31, v12
	v_lshl_or_b32 v3, v3, 9, v0
	v_lshl_or_b32 v7, v7, 9, v0
	v_cndmask_b32_e32 v0, v0, v11, vcc
	v_cmp_eq_u32_e32 vcc, s18, v10
	v_lshrrev_b32_e32 v4, 16, v4
	v_cndmask_b32_e32 v3, v9, v3, vcc
	v_cmp_eq_u32_e32 vcc, s18, v12
	v_lshrrev_b32_e32 v8, 16, v8
	v_cndmask_b32_e32 v0, v0, v7, vcc
	v_and_or_b32 v3, v4, s17, v3
	v_and_or_b32 v0, v8, s17, v0
	v_and_b32_e32 v3, 0xffff, v3
	v_lshl_or_b32 v3, v0, 16, v3
	v_add_co_u32_e32 v0, vcc, v1, v5
	v_addc_co_u32_e32 v1, vcc, v2, v6, vcc
	global_store_dword v[0:1], v3, off
.LBB0_15:
	s_endpgm
	.section	.rodata,"a",@progbits
	.p2align	6, 0x0
	.amdhsa_kernel bluestein_single_back_len136_dim1_half_op_CI_CI
		.amdhsa_group_segment_fixed_size 3808
		.amdhsa_private_segment_fixed_size 0
		.amdhsa_kernarg_size 104
		.amdhsa_user_sgpr_count 6
		.amdhsa_user_sgpr_private_segment_buffer 1
		.amdhsa_user_sgpr_dispatch_ptr 0
		.amdhsa_user_sgpr_queue_ptr 0
		.amdhsa_user_sgpr_kernarg_segment_ptr 1
		.amdhsa_user_sgpr_dispatch_id 0
		.amdhsa_user_sgpr_flat_scratch_init 0
		.amdhsa_user_sgpr_private_segment_size 0
		.amdhsa_uses_dynamic_stack 0
		.amdhsa_system_sgpr_private_segment_wavefront_offset 0
		.amdhsa_system_sgpr_workgroup_id_x 1
		.amdhsa_system_sgpr_workgroup_id_y 0
		.amdhsa_system_sgpr_workgroup_id_z 0
		.amdhsa_system_sgpr_workgroup_info 0
		.amdhsa_system_vgpr_workitem_id 0
		.amdhsa_next_free_vgpr 255
		.amdhsa_next_free_sgpr 35
		.amdhsa_reserve_vcc 1
		.amdhsa_reserve_flat_scratch 0
		.amdhsa_float_round_mode_32 0
		.amdhsa_float_round_mode_16_64 0
		.amdhsa_float_denorm_mode_32 3
		.amdhsa_float_denorm_mode_16_64 3
		.amdhsa_dx10_clamp 1
		.amdhsa_ieee_mode 1
		.amdhsa_fp16_overflow 0
		.amdhsa_exception_fp_ieee_invalid_op 0
		.amdhsa_exception_fp_denorm_src 0
		.amdhsa_exception_fp_ieee_div_zero 0
		.amdhsa_exception_fp_ieee_overflow 0
		.amdhsa_exception_fp_ieee_underflow 0
		.amdhsa_exception_fp_ieee_inexact 0
		.amdhsa_exception_int_div_zero 0
	.end_amdhsa_kernel
	.text
.Lfunc_end0:
	.size	bluestein_single_back_len136_dim1_half_op_CI_CI, .Lfunc_end0-bluestein_single_back_len136_dim1_half_op_CI_CI
                                        ; -- End function
	.section	.AMDGPU.csdata,"",@progbits
; Kernel info:
; codeLenInByte = 24668
; NumSgprs: 39
; NumVgprs: 255
; ScratchSize: 0
; MemoryBound: 0
; FloatMode: 240
; IeeeMode: 1
; LDSByteSize: 3808 bytes/workgroup (compile time only)
; SGPRBlocks: 4
; VGPRBlocks: 63
; NumSGPRsForWavesPerEU: 39
; NumVGPRsForWavesPerEU: 255
; Occupancy: 1
; WaveLimiterHint : 1
; COMPUTE_PGM_RSRC2:SCRATCH_EN: 0
; COMPUTE_PGM_RSRC2:USER_SGPR: 6
; COMPUTE_PGM_RSRC2:TRAP_HANDLER: 0
; COMPUTE_PGM_RSRC2:TGID_X_EN: 1
; COMPUTE_PGM_RSRC2:TGID_Y_EN: 0
; COMPUTE_PGM_RSRC2:TGID_Z_EN: 0
; COMPUTE_PGM_RSRC2:TIDIG_COMP_CNT: 0
	.type	__hip_cuid_c456e8cb7e78d448,@object ; @__hip_cuid_c456e8cb7e78d448
	.section	.bss,"aw",@nobits
	.globl	__hip_cuid_c456e8cb7e78d448
__hip_cuid_c456e8cb7e78d448:
	.byte	0                               ; 0x0
	.size	__hip_cuid_c456e8cb7e78d448, 1

	.ident	"AMD clang version 19.0.0git (https://github.com/RadeonOpenCompute/llvm-project roc-6.4.0 25133 c7fe45cf4b819c5991fe208aaa96edf142730f1d)"
	.section	".note.GNU-stack","",@progbits
	.addrsig
	.addrsig_sym __hip_cuid_c456e8cb7e78d448
	.amdgpu_metadata
---
amdhsa.kernels:
  - .args:
      - .actual_access:  read_only
        .address_space:  global
        .offset:         0
        .size:           8
        .value_kind:     global_buffer
      - .actual_access:  read_only
        .address_space:  global
        .offset:         8
        .size:           8
        .value_kind:     global_buffer
      - .actual_access:  read_only
        .address_space:  global
        .offset:         16
        .size:           8
        .value_kind:     global_buffer
      - .actual_access:  read_only
        .address_space:  global
        .offset:         24
        .size:           8
        .value_kind:     global_buffer
      - .actual_access:  read_only
        .address_space:  global
        .offset:         32
        .size:           8
        .value_kind:     global_buffer
      - .offset:         40
        .size:           8
        .value_kind:     by_value
      - .address_space:  global
        .offset:         48
        .size:           8
        .value_kind:     global_buffer
      - .address_space:  global
        .offset:         56
        .size:           8
        .value_kind:     global_buffer
      - .address_space:  global
        .offset:         64
        .size:           8
        .value_kind:     global_buffer
      - .address_space:  global
        .offset:         72
        .size:           8
        .value_kind:     global_buffer
      - .offset:         80
        .size:           4
        .value_kind:     by_value
      - .address_space:  global
        .offset:         88
        .size:           8
        .value_kind:     global_buffer
      - .address_space:  global
        .offset:         96
        .size:           8
        .value_kind:     global_buffer
    .group_segment_fixed_size: 3808
    .kernarg_segment_align: 8
    .kernarg_segment_size: 104
    .language:       OpenCL C
    .language_version:
      - 2
      - 0
    .max_flat_workgroup_size: 119
    .name:           bluestein_single_back_len136_dim1_half_op_CI_CI
    .private_segment_fixed_size: 0
    .sgpr_count:     39
    .sgpr_spill_count: 0
    .symbol:         bluestein_single_back_len136_dim1_half_op_CI_CI.kd
    .uniform_work_group_size: 1
    .uses_dynamic_stack: false
    .vgpr_count:     255
    .vgpr_spill_count: 0
    .wavefront_size: 64
amdhsa.target:   amdgcn-amd-amdhsa--gfx906
amdhsa.version:
  - 1
  - 2
...

	.end_amdgpu_metadata
